;; amdgpu-corpus repo=ROCm/rocFFT kind=compiled arch=gfx1201 opt=O3
	.text
	.amdgcn_target "amdgcn-amd-amdhsa--gfx1201"
	.amdhsa_code_object_version 6
	.protected	bluestein_single_fwd_len459_dim1_half_op_CI_CI ; -- Begin function bluestein_single_fwd_len459_dim1_half_op_CI_CI
	.globl	bluestein_single_fwd_len459_dim1_half_op_CI_CI
	.p2align	8
	.type	bluestein_single_fwd_len459_dim1_half_op_CI_CI,@function
bluestein_single_fwd_len459_dim1_half_op_CI_CI: ; @bluestein_single_fwd_len459_dim1_half_op_CI_CI
; %bb.0:
	s_load_b128 s[8:11], s[0:1], 0x28
	v_mul_u32_u24_e32 v1, 0x506, v0
	s_mov_b32 s2, exec_lo
	s_delay_alu instid0(VALU_DEP_1) | instskip(NEXT) | instid1(VALU_DEP_1)
	v_lshrrev_b32_e32 v1, 16, v1
	v_mad_co_u64_u32 v[8:9], null, ttmp9, 5, v[1:2]
	v_mov_b32_e32 v9, 0
                                        ; kill: def $vgpr2 killed $sgpr0 killed $exec
	s_wait_kmcnt 0x0
	s_delay_alu instid0(VALU_DEP_1)
	v_cmpx_gt_u64_e64 s[8:9], v[8:9]
	s_cbranch_execz .LBB0_15
; %bb.1:
	v_mul_hi_u32 v2, 0xcccccccd, v8
	s_clause 0x1
	s_load_b64 s[8:9], s[0:1], 0x0
	s_load_b64 s[12:13], s[0:1], 0x38
	v_mul_lo_u16 v1, v1, 51
	s_delay_alu instid0(VALU_DEP_1) | instskip(NEXT) | instid1(VALU_DEP_3)
	v_sub_nc_u16 v0, v0, v1
	v_lshrrev_b32_e32 v2, 2, v2
	s_delay_alu instid0(VALU_DEP_2) | instskip(NEXT) | instid1(VALU_DEP_2)
	v_and_b32_e32 v32, 0xffff, v0
	v_lshl_add_u32 v2, v2, 2, v2
	v_cmp_gt_u16_e32 vcc_lo, 27, v0
	s_delay_alu instid0(VALU_DEP_3) | instskip(NEXT) | instid1(VALU_DEP_3)
	v_lshlrev_b32_e32 v31, 2, v32
	v_sub_nc_u32_e32 v1, v8, v2
	s_delay_alu instid0(VALU_DEP_1) | instskip(NEXT) | instid1(VALU_DEP_1)
	v_mul_u32_u24_e32 v25, 0x1cb, v1
	v_lshlrev_b32_e32 v33, 2, v25
	s_and_saveexec_b32 s3, vcc_lo
	s_cbranch_execz .LBB0_3
; %bb.2:
	s_load_b64 s[4:5], s[0:1], 0x18
	s_wait_kmcnt 0x0
	s_load_b128 s[4:7], s[4:5], 0x0
	s_wait_kmcnt 0x0
	v_mad_co_u64_u32 v[0:1], null, s6, v8, 0
	v_mad_co_u64_u32 v[2:3], null, s4, v32, 0
	s_delay_alu instid0(VALU_DEP_1) | instskip(NEXT) | instid1(VALU_DEP_1)
	v_mad_co_u64_u32 v[4:5], null, s7, v8, v[1:2]
	v_mad_co_u64_u32 v[5:6], null, s5, v32, v[3:4]
	v_mov_b32_e32 v1, v4
	s_mul_u64 s[4:5], s[4:5], 0x6c
	s_clause 0x7
	global_load_b32 v6, v31, s[8:9]
	global_load_b32 v7, v31, s[8:9] offset:108
	global_load_b32 v9, v31, s[8:9] offset:216
	;; [unrolled: 1-line block ×7, first 2 shown]
	v_lshlrev_b64_e32 v[0:1], 2, v[0:1]
	v_mov_b32_e32 v3, v5
	s_delay_alu instid0(VALU_DEP_2) | instskip(NEXT) | instid1(VALU_DEP_2)
	v_add_co_u32 v0, s2, s10, v0
	v_lshlrev_b64_e32 v[2:3], 2, v[2:3]
	s_delay_alu instid0(VALU_DEP_4) | instskip(NEXT) | instid1(VALU_DEP_2)
	v_add_co_ci_u32_e64 v1, s2, s11, v1, s2
	v_add_co_u32 v0, s2, v0, v2
	s_wait_alu 0xf1ff
	s_delay_alu instid0(VALU_DEP_2)
	v_add_co_ci_u32_e64 v1, s2, v1, v3, s2
	global_load_b32 v15, v[0:1], off
	s_wait_alu 0xfffe
	v_add_co_u32 v0, s2, v0, s4
	s_wait_alu 0xf1ff
	v_add_co_ci_u32_e64 v1, s2, s5, v1, s2
	s_clause 0x7
	global_load_b32 v16, v31, s[8:9] offset:864
	global_load_b32 v17, v31, s[8:9] offset:972
	;; [unrolled: 1-line block ×8, first 2 shown]
	global_load_b32 v24, v[0:1], off
	v_add_co_u32 v0, s2, v0, s4
	s_wait_alu 0xf1ff
	v_add_co_ci_u32_e64 v1, s2, s5, v1, s2
	global_load_b32 v26, v31, s[8:9] offset:1728
	v_add_co_u32 v2, s2, v0, s4
	s_wait_alu 0xf1ff
	v_add_co_ci_u32_e64 v3, s2, s5, v1, s2
	global_load_b32 v27, v[0:1], off
	v_add_co_u32 v0, s2, v2, s4
	s_wait_alu 0xf1ff
	v_add_co_ci_u32_e64 v1, s2, s5, v3, s2
	s_clause 0x1
	global_load_b32 v28, v[2:3], off
	global_load_b32 v29, v[0:1], off
	v_add_co_u32 v0, s2, v0, s4
	s_wait_alu 0xf1ff
	v_add_co_ci_u32_e64 v1, s2, s5, v1, s2
	s_delay_alu instid0(VALU_DEP_2) | instskip(SKIP_1) | instid1(VALU_DEP_2)
	v_add_co_u32 v2, s2, v0, s4
	s_wait_alu 0xf1ff
	v_add_co_ci_u32_e64 v3, s2, s5, v1, s2
	global_load_b32 v30, v[0:1], off
	global_load_b32 v34, v[2:3], off
	v_add_co_u32 v0, s2, v2, s4
	s_wait_alu 0xf1ff
	v_add_co_ci_u32_e64 v1, s2, s5, v3, s2
	s_delay_alu instid0(VALU_DEP_2) | instskip(SKIP_1) | instid1(VALU_DEP_2)
	v_add_co_u32 v2, s2, v0, s4
	s_wait_alu 0xf1ff
	v_add_co_ci_u32_e64 v3, s2, s5, v1, s2
	global_load_b32 v35, v[0:1], off
	v_add_co_u32 v0, s2, v2, s4
	s_wait_alu 0xf1ff
	v_add_co_ci_u32_e64 v1, s2, s5, v3, s2
	global_load_b32 v36, v[2:3], off
	global_load_b32 v37, v[0:1], off
	v_add_co_u32 v0, s2, v0, s4
	s_wait_alu 0xf1ff
	v_add_co_ci_u32_e64 v1, s2, s5, v1, s2
	s_delay_alu instid0(VALU_DEP_2) | instskip(SKIP_1) | instid1(VALU_DEP_2)
	v_add_co_u32 v2, s2, v0, s4
	s_wait_alu 0xf1ff
	v_add_co_ci_u32_e64 v3, s2, s5, v1, s2
	global_load_b32 v38, v[0:1], off
	v_add_co_u32 v0, s2, v2, s4
	s_wait_alu 0xf1ff
	v_add_co_ci_u32_e64 v1, s2, s5, v3, s2
	global_load_b32 v39, v[2:3], off
	;; [unrolled: 4-line block ×4, first 2 shown]
	v_add_co_u32 v2, s2, v0, s4
	s_wait_alu 0xf1ff
	v_add_co_ci_u32_e64 v3, s2, s5, v1, s2
	s_delay_alu instid0(VALU_DEP_2) | instskip(SKIP_1) | instid1(VALU_DEP_2)
	v_add_co_u32 v4, s2, v2, s4
	s_wait_alu 0xf1ff
	v_add_co_ci_u32_e64 v5, s2, s5, v3, s2
	global_load_b32 v0, v[0:1], off
	global_load_b32 v1, v[2:3], off
	;; [unrolled: 1-line block ×3, first 2 shown]
	v_lshl_add_u32 v4, v32, 2, v33
	v_add_nc_u32_e32 v3, v33, v31
	s_delay_alu instid0(VALU_DEP_1)
	v_add_nc_u32_e32 v5, 0x200, v3
	s_wait_loadcnt 0x21
	v_lshrrev_b32_e32 v42, 16, v6
	s_wait_loadcnt 0x20
	v_lshrrev_b32_e32 v43, 16, v7
	;; [unrolled: 2-line block ×11, first 2 shown]
	v_lshrrev_b32_e32 v55, 16, v15
	v_mul_f16_e32 v58, v42, v15
	s_wait_loadcnt 0x15
	v_lshrrev_b32_e32 v53, 16, v19
	s_wait_loadcnt 0x14
	v_lshrrev_b32_e32 v54, 16, v20
	;; [unrolled: 2-line block ×3, first 2 shown]
	v_mul_f16_e32 v42, v42, v55
	s_wait_loadcnt 0x10
	v_lshrrev_b32_e32 v60, 16, v24
	v_fma_f16 v55, v6, v55, -v58
	v_mul_f16_e32 v58, v43, v24
	v_lshrrev_b32_e32 v57, 16, v22
	v_fmac_f16_e32 v42, v6, v15
	v_mul_f16_e32 v6, v43, v60
	v_lshrrev_b32_e32 v59, 16, v23
	v_fma_f16 v58, v7, v60, -v58
	s_wait_loadcnt 0xf
	v_lshrrev_b32_e32 v61, 16, v26
	s_wait_loadcnt 0xe
	v_lshrrev_b32_e32 v15, 16, v27
	v_mul_f16_e32 v43, v44, v27
	v_pack_b32_f16 v42, v42, v55
	v_fmac_f16_e32 v6, v7, v24
	s_delay_alu instid0(VALU_DEP_4)
	v_mul_f16_e32 v7, v44, v15
	s_wait_loadcnt 0xd
	v_lshrrev_b32_e32 v24, 16, v28
	v_fma_f16 v15, v9, v15, -v43
	v_mul_f16_e32 v43, v45, v28
	ds_store_b32 v4, v42
	v_pack_b32_f16 v4, v6, v58
	v_fmac_f16_e32 v7, v9, v27
	v_mul_f16_e32 v6, v45, v24
	s_wait_loadcnt 0xc
	v_lshrrev_b32_e32 v9, 16, v29
	v_mul_f16_e32 v27, v46, v29
	v_fma_f16 v24, v10, v24, -v43
	v_pack_b32_f16 v7, v7, v15
	v_fmac_f16_e32 v6, v10, v28
	v_mul_f16_e32 v10, v46, v9
	s_wait_loadcnt 0xb
	v_lshrrev_b32_e32 v15, 16, v30
	v_fma_f16 v9, v11, v9, -v27
	ds_store_2addr_b32 v3, v4, v7 offset0:27 offset1:54
	s_wait_loadcnt 0xa
	v_lshrrev_b32_e32 v7, 16, v34
	v_fmac_f16_e32 v10, v11, v29
	v_mul_f16_e32 v27, v47, v30
	v_pack_b32_f16 v4, v6, v24
	v_mul_f16_e32 v6, v47, v15
	v_mul_f16_e32 v11, v48, v34
	v_pack_b32_f16 v9, v10, v9
	v_mul_f16_e32 v10, v48, v7
	v_fma_f16 v15, v12, v15, -v27
	v_fmac_f16_e32 v6, v12, v30
	v_fma_f16 v7, v13, v7, -v11
	s_wait_loadcnt 0x9
	v_lshrrev_b32_e32 v11, 16, v35
	ds_store_2addr_b32 v3, v4, v9 offset0:81 offset1:108
	v_fmac_f16_e32 v10, v13, v34
	s_wait_loadcnt 0x8
	v_lshrrev_b32_e32 v9, 16, v36
	v_mul_f16_e32 v12, v49, v35
	v_pack_b32_f16 v4, v6, v15
	v_mul_f16_e32 v6, v49, v11
	v_mul_f16_e32 v13, v50, v36
	v_pack_b32_f16 v7, v10, v7
	v_mul_f16_e32 v10, v50, v9
	v_fma_f16 v11, v14, v11, -v12
	v_fmac_f16_e32 v6, v14, v35
	s_wait_loadcnt 0x7
	v_lshrrev_b32_e32 v12, 16, v37
	v_fma_f16 v9, v16, v9, -v13
	v_mul_f16_e32 v13, v51, v37
	ds_store_2addr_b32 v3, v4, v7 offset0:135 offset1:162
	v_fmac_f16_e32 v10, v16, v36
	s_wait_loadcnt 0x6
	v_lshrrev_b32_e32 v7, 16, v38
	v_pack_b32_f16 v4, v6, v11
	v_mul_f16_e32 v6, v51, v12
	v_fma_f16 v11, v17, v12, -v13
	v_mul_f16_e32 v12, v52, v38
	v_pack_b32_f16 v9, v10, v9
	v_mul_f16_e32 v10, v52, v7
	v_fmac_f16_e32 v6, v17, v37
	s_wait_loadcnt 0x5
	v_lshrrev_b32_e32 v13, 16, v39
	v_fma_f16 v7, v18, v7, -v12
	v_mul_f16_e32 v12, v53, v39
	v_fmac_f16_e32 v10, v18, v38
	s_wait_loadcnt 0x4
	v_lshrrev_b32_e32 v14, 16, v40
	v_pack_b32_f16 v6, v6, v11
	v_mul_f16_e32 v11, v53, v13
	v_fma_f16 v12, v19, v13, -v12
	v_mul_f16_e32 v13, v54, v40
	v_pack_b32_f16 v7, v10, v7
	v_mul_f16_e32 v10, v54, v14
	v_fmac_f16_e32 v11, v19, v39
	s_wait_loadcnt 0x3
	v_lshrrev_b32_e32 v15, 16, v41
	v_mul_f16_e32 v16, v56, v41
	v_fma_f16 v13, v20, v14, -v13
	v_fmac_f16_e32 v10, v20, v40
	v_pack_b32_f16 v11, v11, v12
	v_mul_f16_e32 v12, v56, v15
	v_fma_f16 v14, v21, v15, -v16
	s_wait_loadcnt 0x2
	v_lshrrev_b32_e32 v15, 16, v0
	v_mul_f16_e32 v16, v57, v0
	v_pack_b32_f16 v10, v10, v13
	s_wait_loadcnt 0x1
	v_lshrrev_b32_e32 v13, 16, v1
	s_wait_loadcnt 0x0
	v_lshrrev_b32_e32 v17, 16, v2
	v_mul_f16_e32 v18, v57, v15
	v_fmac_f16_e32 v12, v21, v41
	v_fma_f16 v15, v22, v15, -v16
	v_mul_f16_e32 v16, v59, v1
	v_mul_f16_e32 v19, v59, v13
	;; [unrolled: 1-line block ×4, first 2 shown]
	v_fmac_f16_e32 v18, v22, v0
	v_fma_f16 v0, v23, v13, -v16
	v_fmac_f16_e32 v19, v23, v1
	v_fmac_f16_e32 v20, v26, v2
	v_add_nc_u32_e32 v2, 0x400, v3
	v_fma_f16 v1, v26, v17, -v21
	v_pack_b32_f16 v12, v12, v14
	v_pack_b32_f16 v13, v18, v15
	;; [unrolled: 1-line block ×3, first 2 shown]
	s_delay_alu instid0(VALU_DEP_4)
	v_pack_b32_f16 v1, v20, v1
	ds_store_2addr_b32 v3, v4, v9 offset0:189 offset1:216
	ds_store_2addr_b32 v5, v6, v7 offset0:115 offset1:142
	;; [unrolled: 1-line block ×5, first 2 shown]
.LBB0_3:
	s_or_b32 exec_lo, exec_lo, s3
	s_clause 0x1
	s_load_b64 s[2:3], s[0:1], 0x20
	s_load_b64 s[0:1], s[0:1], 0x8
	v_mov_b32_e32 v6, 0
	global_wb scope:SCOPE_SE
	s_wait_dscnt 0x0
	s_wait_kmcnt 0x0
	s_barrier_signal -1
	s_barrier_wait -1
	global_inv scope:SCOPE_SE
                                        ; implicit-def: $vgpr26
                                        ; implicit-def: $vgpr1
                                        ; implicit-def: $vgpr3
                                        ; implicit-def: $vgpr5
                                        ; implicit-def: $vgpr18
                                        ; implicit-def: $vgpr20
                                        ; implicit-def: $vgpr22
                                        ; implicit-def: $vgpr24
                                        ; implicit-def: $vgpr59
                                        ; kill: def $vgpr0 killed $sgpr0 killed $exec
	s_and_saveexec_b32 s4, vcc_lo
	s_cbranch_execz .LBB0_5
; %bb.4:
	v_lshl_add_u32 v9, v25, 2, v31
	ds_load_2addr_b32 v[6:7], v9 offset1:27
	v_add_nc_u32_e32 v0, 0x400, v9
	ds_load_2addr_b32 v[23:24], v9 offset0:54 offset1:81
	ds_load_2addr_b32 v[21:22], v9 offset0:108 offset1:135
	;; [unrolled: 1-line block ×7, first 2 shown]
	ds_load_b32 v26, v9 offset:1728
	s_wait_dscnt 0x7
	v_alignbit_b32 v59, v23, v23, 16
.LBB0_5:
	s_wait_alu 0xfffe
	s_or_b32 exec_lo, exec_lo, s4
	s_wait_dscnt 0x0
	v_pk_add_f16 v36, v7, v26 neg_lo:[0,1] neg_hi:[0,1]
	v_pk_add_f16 v37, v59, v1 op_sel:[1,0] op_sel_hi:[0,1] neg_lo:[0,1] neg_hi:[0,1]
	v_pk_add_f16 v67, v26, v7
	v_pk_add_f16 v66, v1, v59 op_sel:[1,0] op_sel_hi:[0,1]
	v_pk_add_f16 v38, v24, v0 neg_lo:[0,1] neg_hi:[0,1]
	v_lshrrev_b32_e32 v13, 16, v36
	v_lshrrev_b32_e32 v14, 16, v37
	v_pk_add_f16 v40, v21, v3 neg_lo:[0,1] neg_hi:[0,1]
	v_lshrrev_b32_e32 v72, 16, v66
	v_lshrrev_b32_e32 v15, 16, v38
	v_mul_f16_e32 v28, 0xb5c8, v13
	v_mul_f16_e32 v48, 0xbbf7, v13
	;; [unrolled: 1-line block ×5, first 2 shown]
	v_fmamk_f16 v9, v67, 0x3b76, v28
	v_fmamk_f16 v11, v67, 0x2de8, v48
	;; [unrolled: 1-line block ×4, first 2 shown]
	v_mul_f16_e32 v46, 0xba62, v14
	v_add_f16_e32 v9, v9, v6
	v_add_f16_e32 v11, v11, v6
	v_fmamk_f16 v16, v72, 0xbbdd, v50
	v_add_f16_e32 v10, v10, v6
	v_pk_add_f16 v71, v0, v24
	v_add_f16_e32 v9, v12, v9
	v_fmamk_f16 v12, v72, 0xb8d2, v46
	v_mul_f16_e32 v30, 0xbb29, v15
	v_add_f16_e32 v11, v16, v11
	v_mul_f16_e32 v49, 0x31e1, v15
	v_lshrrev_b32_e32 v16, 16, v40
	v_add_f16_e32 v10, v12, v10
	v_fmamk_f16 v12, v71, 0x3722, v30
	v_pk_add_f16 v73, v3, v21
	v_fmamk_f16 v41, v71, 0xbbdd, v49
	v_mul_f16_e32 v34, 0xbbf7, v16
	v_mul_f16_e32 v56, 0x3bb2, v15
	v_add_f16_e32 v9, v12, v9
	v_mul_f16_e32 v54, 0x3bb2, v16
	v_add_f16_e32 v10, v41, v10
	v_fmamk_f16 v44, v73, 0x2de8, v34
	v_pk_add_f16 v41, v22, v2 neg_lo:[0,1] neg_hi:[0,1]
	v_fmamk_f16 v12, v71, 0xb461, v56
	v_mul_f16_e32 v58, 0x35c8, v16
	v_pk_mul_f16 v39, 0x3b7639e9, v67
	v_add_f16_e32 v9, v44, v9
	v_lshrrev_b32_e32 v87, 16, v41
	v_pk_add_f16 v44, v19, v5 neg_lo:[0,1] neg_hi:[0,1]
	v_add_f16_e32 v11, v12, v11
	v_fmamk_f16 v12, v73, 0xb461, v54
	v_fmamk_f16 v51, v73, 0x3b76, v58
	v_pk_add_f16 v74, v2, v22
	v_mul_f16_e32 v47, 0xbbb2, v87
	v_lshrrev_b32_e32 v88, 16, v44
	v_mul_f16_e32 v57, 0x3964, v87
	v_pk_mul_f16 v35, 0xbbf7b964, v37
	v_pk_fma_f16 v23, 0xb964b5c8, v36, v39 op_sel:[0,0,1] op_sel_hi:[1,1,0]
	v_add_f16_e32 v10, v12, v10
	v_add_f16_e32 v11, v51, v11
	v_fmamk_f16 v12, v74, 0xb461, v47
	v_mul_f16_e32 v65, 0xbb29, v87
	v_pk_add_f16 v77, v5, v19
	v_mul_f16_e32 v51, 0xba62, v88
	v_fmamk_f16 v60, v74, 0x39e9, v57
	v_pk_fma_f16 v29, 0x2de839e9, v66, v35
	v_pk_mul_f16 v43, 0x3722b8d2, v71
	v_fmamk_f16 v61, v74, 0x3722, v65
	v_add_f16_e32 v9, v12, v9
	v_fmamk_f16 v12, v77, 0xb8d2, v51
	v_add_f16_e32 v10, v60, v10
	v_pk_add_f16 v115, v20, v4 neg_lo:[0,1] neg_hi:[0,1]
	v_lshrrev_b32_e32 v60, 16, v23
	v_pk_fma_f16 v42, 0xba62bb29, v38, v43 op_sel:[0,0,1] op_sel_hi:[1,1,0]
	v_pk_mul_f16 v101, 0x2de8bbdd, v73
	v_add_f16_e32 v11, v61, v11
	v_add_f16_e32 v9, v12, v9
	v_mul_f16_e32 v68, 0xb5c8, v88
	v_lshrrev_b32_e32 v89, 16, v115
	v_add_f16_e32 v12, v60, v6
	v_lshrrev_b32_e32 v61, 16, v29
	v_pk_fma_f16 v52, 0xb1e1bbf7, v40, v101 op_sel:[0,0,1] op_sel_hi:[1,1,0]
	v_pk_mul_f16 v107, 0xb461bacd, v74
	v_fmamk_f16 v62, v77, 0x3b76, v68
	v_pk_add_f16 v80, v4, v20
	v_mul_f16_e32 v60, 0xb836, v89
	v_add_f16_e32 v12, v61, v12
	v_lshrrev_b32_e32 v63, 16, v42
	v_pk_fma_f16 v53, 0x3836bbb2, v41, v107 op_sel:[0,0,1] op_sel_hi:[1,1,0]
	v_pk_mul_f16 v109, 0xb8d2b461, v77
	v_mul_f16_e32 v75, 0xb836, v88
	v_add_f16_e32 v10, v62, v10
	v_fmamk_f16 v62, v80, 0xbacd, v60
	v_add_f16_e32 v12, v63, v12
	v_lshrrev_b32_e32 v63, 16, v52
	v_pk_add_f16 v120, v17, v18 neg_lo:[0,1] neg_hi:[0,1]
	v_pk_fma_f16 v61, 0x3bb2ba62, v44, v109 op_sel:[0,0,1] op_sel_hi:[1,1,0]
	v_fmamk_f16 v64, v77, 0xbacd, v75
	v_pk_mul_f16 v116, 0xbacd3722, v80
	v_add_f16_e32 v9, v62, v9
	v_add_f16_e32 v12, v63, v12
	v_lshrrev_b32_e32 v62, 16, v53
	v_mul_f16_e32 v69, 0xbbf7, v89
	v_pk_add_f16 v79, v18, v17
	v_lshrrev_b32_e32 v91, 16, v120
	v_mul_f16_e32 v55, 0xbbb2, v13
	v_add_f16_e32 v11, v64, v11
	v_pk_fma_f16 v63, 0x3b29b836, v115, v116 op_sel:[0,0,1] op_sel_hi:[1,1,0]
	v_add_f16_e32 v12, v62, v12
	v_lshrrev_b32_e32 v64, 16, v61
	v_fmamk_f16 v70, v80, 0x2de8, v69
	v_pk_mul_f16 v184, 0xbbdd3b76, v79
	v_mul_f16_e32 v76, 0x3a62, v89
	v_mul_f16_e32 v62, 0xb1e1, v91
	v_mul_f16_e32 v96, 0xba62, v13
	v_add_f16_e32 v12, v64, v12
	v_lshrrev_b32_e32 v78, 16, v63
	v_pk_fma_f16 v64, 0x35c8b1e1, v120, v184 op_sel:[0,0,1] op_sel_hi:[1,1,0]
	v_add_f16_e32 v82, v70, v10
	v_fmamk_f16 v10, v80, 0xb8d2, v76
	v_fmamk_f16 v83, v79, 0xbbdd, v62
	;; [unrolled: 1-line block ×3, first 2 shown]
	v_mul_f16_e32 v81, 0x3836, v14
	v_fmamk_f16 v86, v67, 0xb8d2, v96
	v_mul_f16_e32 v98, 0x3bb2, v14
	v_add_f16_e32 v12, v78, v12
	v_lshrrev_b32_e32 v85, 16, v64
	v_add_f16_e32 v11, v10, v11
	v_add_f16_e32 v10, v83, v9
	;; [unrolled: 1-line block ×3, first 2 shown]
	v_fmamk_f16 v90, v72, 0xbacd, v81
	v_add_f16_e32 v86, v86, v6
	v_fmamk_f16 v92, v72, 0xb461, v98
	v_mul_f16_e32 v84, 0x3964, v15
	v_mul_f16_e32 v99, 0xb5c8, v15
	v_add_f16_e32 v9, v85, v12
	v_add_f16_e32 v12, v90, v83
	;; [unrolled: 1-line block ×3, first 2 shown]
	v_fmamk_f16 v85, v71, 0x39e9, v84
	v_fmamk_f16 v90, v71, 0x3b76, v99
	v_mul_f16_e32 v86, 0xbb29, v16
	v_mul_f16_e32 v100, 0xb836, v16
	;; [unrolled: 1-line block ×3, first 2 shown]
	v_add_f16_e32 v12, v85, v12
	v_add_f16_e32 v85, v90, v83
	v_fmamk_f16 v90, v73, 0x3722, v86
	v_fmamk_f16 v93, v73, 0xbacd, v100
	v_mul_f16_e32 v83, 0xb1e1, v87
	v_mul_f16_e32 v94, 0x3bf7, v87
	v_fmamk_f16 v92, v79, 0xbacd, v70
	v_add_f16_e32 v90, v90, v12
	v_add_f16_e32 v93, v93, v85
	v_fmamk_f16 v102, v74, 0xbbdd, v83
	v_fmamk_f16 v103, v74, 0x2de8, v94
	v_mul_f16_e32 v85, 0x3bf7, v88
	v_mul_f16_e32 v95, 0xb964, v88
	v_add_f16_e32 v12, v92, v82
	v_add_f16_e32 v90, v102, v90
	;; [unrolled: 1-line block ×3, first 2 shown]
	v_fmamk_f16 v93, v77, 0x2de8, v85
	v_fmamk_f16 v102, v77, 0x39e9, v95
	v_mul_f16_e32 v82, 0xb5c8, v89
	v_mul_f16_e32 v123, 0xb836, v13
	;; [unrolled: 1-line block ×3, first 2 shown]
	v_add_f16_e32 v90, v93, v90
	v_add_f16_e32 v92, v102, v92
	v_fmamk_f16 v93, v80, 0x3b76, v82
	v_fmamk_f16 v102, v67, 0xbacd, v123
	v_mul_f16_e64 v145, 0xb1e1, v13
	v_mul_f16_e32 v78, 0x3964, v91
	v_mul_f16_e64 v148, 0x35c8, v14
	v_add_f16_e32 v13, v93, v90
	v_add_f16_e32 v93, v102, v6
	v_fmamk_f16 v102, v72, 0x3722, v124
	v_fma_f16 v103, 0xbbdd, v67, v145
	v_mul_f16_e64 v130, 0xbbf7, v15
	v_fmamk_f16 v97, v79, 0x39e9, v78
	v_mul_f16_e64 v149, 0xb836, v15
	v_add_f16_e32 v14, v102, v93
	v_add_f16_e32 v93, v103, v6
	v_fma_f16 v102, 0x3b76, v72, v148
	v_fma_f16 v103, 0x2de8, v71, v130
	v_mul_f16_e64 v132, 0x3a62, v16
	v_add_f16_e32 v11, v97, v11
	v_mul_f16_e32 v97, 0xb1e1, v89
	v_add_f16_e32 v15, v102, v93
	v_add_f16_e32 v14, v103, v14
	v_fma_f16 v93, 0xbacd, v71, v149
	v_fma_f16 v102, 0xb8d2, v73, v132
	v_mul_f16_e64 v150, 0x3964, v16
	v_mul_f16_e64 v133, 0xb5c8, v87
	v_fmamk_f16 v90, v80, 0xbbdd, v97
	v_add_f16_e32 v15, v93, v15
	v_add_f16_e32 v14, v102, v14
	v_fma_f16 v93, 0x39e9, v73, v150
	v_fma_f16 v102, 0x3b76, v74, v133
	v_mul_f16_e64 v144, 0xba62, v87
	v_mul_f16_e32 v126, 0xb1e1, v88
	v_add_f16_e32 v92, v90, v92
	v_mul_f16_e32 v90, 0xba62, v91
	v_add_f16_e32 v15, v93, v15
	v_add_f16_e32 v14, v102, v14
	v_fma_f16 v87, 0xb8d2, v74, v144
	v_fmamk_f16 v93, v77, 0xbbdd, v126
	v_mul_f16_e64 v147, 0x3b29, v88
	v_mul_f16_e32 v127, 0x3964, v89
	v_fmamk_f16 v16, v79, 0xb8d2, v90
	v_mul_f16_e32 v105, 0x3b29, v91
	v_add_f16_e32 v15, v87, v15
	v_add_f16_e32 v87, v93, v14
	v_fma_f16 v93, 0x3722, v77, v147
	v_fmamk_f16 v102, v80, 0x39e9, v127
	v_mul_f16_e64 v143, 0xbbb2, v89
	v_fmamk_f16 v88, v79, 0x3722, v105
	v_add_f16_e32 v14, v16, v13
	v_add_f16_e32 v15, v93, v15
	;; [unrolled: 1-line block ×3, first 2 shown]
	v_mul_f16_e64 v128, 0xbbb2, v91
	v_fma_f16 v87, 0xb461, v80, v143
	v_mul_f16_e64 v140, 0x3bf7, v91
	v_lshrrev_b32_e32 v158, 16, v67
	v_mul_f16_e32 v89, 0xb964, v36
	v_add_f16_e32 v13, v88, v92
	v_fma_f16 v91, 0xb461, v79, v128
	v_add_f16_e32 v15, v87, v15
	v_fma_f16 v87, 0x2de8, v79, v140
	v_lshrrev_b32_e32 v88, 16, v6
	v_fma_f16 v92, v158, 0x39e9, -v89
	v_mul_f16_e32 v103, 0xbb29, v36
	v_mul_f16_e32 v112, 0xbbf7, v36
	v_add_f16_e32 v16, v91, v16
	v_add_f16_e32 v15, v87, v15
	v_add_f16_e32 v87, v92, v88
	v_mul_f16_e32 v91, 0xbbf7, v37
	v_fma_f16 v92, v158, 0x3722, -v103
	v_mul_f16_e32 v104, 0xba62, v37
	v_fma_f16 v93, v158, 0x2de8, -v112
	;; [unrolled: 2-line block ×3, first 2 shown]
	v_add_f16_e32 v92, v92, v88
	v_fma_f16 v106, v66, 0xb8d2, -v104
	v_add_f16_e32 v93, v93, v88
	v_fma_f16 v108, v66, 0xbbdd, -v113
	v_mul_f16_e64 v129, 0xbbb2, v36
	v_mul_f16_e64 v142, 0xba62, v36
	v_add_f16_e32 v102, v102, v87
	v_add_f16_e32 v92, v106, v92
	;; [unrolled: 1-line block ×3, first 2 shown]
	v_fma_f16 v87, v158, 0xb461, -v129
	v_mul_f16_e64 v131, 0x3836, v37
	v_fma_f16 v93, v158, 0xb8d2, -v142
	v_mul_f16_e64 v146, 0x3bb2, v37
	v_mul_f16_e64 v163, 0xb836, v36
	v_add_f16_e32 v87, v87, v88
	v_fma_f16 v108, v66, 0xbacd, -v131
	v_add_f16_e32 v93, v93, v88
	v_fma_f16 v110, v66, 0xb461, -v146
	v_fma_f16 v111, v158, 0xbacd, -v163
	v_mul_f16_e64 v164, 0x3b29, v37
	v_mul_f16_e64 v173, 0xb1e1, v36
	v_add_f16_e32 v108, v108, v87
	v_add_f16_e32 v110, v110, v93
	;; [unrolled: 1-line block ×3, first 2 shown]
	v_fma_f16 v111, v66, 0x3722, -v164
	v_mul_f16_e64 v172, 0x35c8, v37
	v_fma_f16 v37, v158, 0xbbdd, -v173
	v_lshrrev_b32_e32 v155, 16, v71
	v_mul_f16_e32 v93, 0xba62, v38
	v_add_f16_e32 v114, v111, v87
	v_pk_fma_f16 v87, 0xb964b5c8, v36, v39 op_sel:[0,0,1] op_sel_hi:[1,1,0] neg_lo:[0,1,0] neg_hi:[0,1,0]
	v_add_f16_e32 v36, v37, v88
	v_fma_f16 v37, v66, 0x3b76, -v172
	v_fma_f16 v39, v155, 0xb8d2, -v93
	v_mul_f16_e32 v111, 0x31e1, v38
	v_mul_f16_e32 v118, 0x3bb2, v38
	v_mul_f16_e64 v136, 0x3964, v38
	v_add_f16_e32 v36, v37, v36
	v_add_f16_e32 v37, v39, v102
	v_fma_f16 v39, v155, 0xbbdd, -v111
	v_fma_f16 v102, v155, 0xb461, -v118
	;; [unrolled: 1-line block ×3, first 2 shown]
	v_mul_f16_e64 v153, 0xb5c8, v38
	v_mul_f16_e64 v168, 0xbbf7, v38
	v_add_f16_e32 v39, v39, v92
	v_add_f16_e32 v106, v102, v106
	;; [unrolled: 1-line block ×3, first 2 shown]
	v_fma_f16 v92, v155, 0x3b76, -v153
	v_fma_f16 v117, v155, 0x2de8, -v168
	v_mul_f16_e64 v176, 0xb836, v38
	v_lshrrev_b32_e32 v156, 16, v73
	v_mul_f16_e32 v102, 0xb1e1, v40
	v_add_f16_e32 v110, v92, v110
	v_add_f16_e32 v117, v117, v114
	v_pk_fma_f16 v92, 0xba62bb29, v38, v43 op_sel:[0,0,1] op_sel_hi:[1,1,0] neg_lo:[0,1,0] neg_hi:[0,1,0]
	v_fma_f16 v38, v155, 0xbacd, -v176
	v_fma_f16 v43, v156, 0xbbdd, -v102
	v_mul_f16_e32 v114, 0x3bb2, v40
	v_mul_f16_e32 v121, 0x35c8, v40
	v_mul_f16_e64 v138, 0xbb29, v40
	v_add_f16_e32 v36, v38, v36
	v_add_f16_e32 v37, v43, v37
	v_fma_f16 v38, v156, 0xb461, -v114
	v_fma_f16 v43, v156, 0x3b76, -v121
	;; [unrolled: 1-line block ×3, first 2 shown]
	v_mul_f16_e64 v170, 0x3a62, v40
	v_mul_f16_e64 v157, 0xb836, v40
	v_add_f16_e32 v38, v38, v39
	v_add_f16_e32 v39, v43, v106
	;; [unrolled: 1-line block ×3, first 2 shown]
	v_fma_f16 v119, v156, 0xb8d2, -v170
	v_mul_f16_e64 v178, 0x3964, v40
	v_fma_f16 v108, v156, 0xbacd, -v157
	v_lshrrev_b32_e32 v159, 16, v74
	v_mul_f16_e32 v106, 0x3836, v41
	v_add_f16_e32 v119, v119, v117
	v_pk_fma_f16 v101, 0xb1e1bbf7, v40, v101 op_sel:[0,0,1] op_sel_hi:[1,1,0] neg_lo:[0,1,0] neg_hi:[0,1,0]
	v_fma_f16 v40, v156, 0x39e9, -v178
	v_mul_f16_e32 v117, 0x3964, v41
	v_mul_f16_e64 v141, 0xb1e1, v41
	v_add_f16_e32 v110, v108, v110
	v_fma_f16 v108, v159, 0xbacd, -v106
	v_mul_f16_e64 v134, 0xbb29, v41
	v_add_f16_e32 v36, v40, v36
	v_fma_f16 v40, v159, 0x39e9, -v117
	v_fma_f16 v122, v159, 0xbbdd, -v141
	v_mul_f16_e64 v162, 0x3bf7, v41
	v_add_f16_e32 v37, v108, v37
	v_fma_f16 v108, v159, 0x3722, -v134
	v_mul_f16_e64 v171, 0xb5c8, v41
	v_add_f16_e32 v38, v40, v38
	v_add_f16_e32 v40, v122, v43
	v_fma_f16 v43, v159, 0x2de8, -v162
	v_mul_f16_e64 v179, 0xba62, v41
	v_add_f16_e32 v39, v108, v39
	v_fma_f16 v122, v159, 0x3b76, -v171
	v_lshrrev_b32_e32 v160, 16, v77
	v_mul_f16_e32 v108, 0x3bb2, v44
	v_add_f16_e32 v43, v43, v110
	v_fma_f16 v110, v159, 0xb8d2, -v179
	v_mul_f16_e64 v137, 0xb836, v44
	v_add_f16_e32 v119, v122, v119
	v_mul_f16_e32 v125, 0xb5c8, v44
	v_fma_f16 v122, v160, 0xb461, -v108
	v_add_f16_e32 v36, v110, v36
	v_fma_f16 v110, v160, 0xbacd, -v137
	v_mul_f16_e64 v166, 0xb964, v44
	v_pk_fma_f16 v107, 0x3836bbb2, v41, v107 op_sel:[0,0,1] op_sel_hi:[1,1,0] neg_lo:[0,1,0] neg_hi:[0,1,0]
	v_fma_f16 v41, v160, 0x3b76, -v125
	v_add_f16_e32 v37, v122, v37
	v_mul_f16_e64 v151, 0x3bf7, v44
	v_add_f16_e32 v39, v110, v39
	v_fma_f16 v122, v160, 0x39e9, -v166
	v_lshrrev_b32_e32 v161, 16, v80
	v_mul_f16_e32 v110, 0x3b29, v115
	v_add_f16_e32 v38, v41, v38
	v_mul_f16_e64 v175, 0xb1e1, v44
	v_fma_f16 v41, v160, 0x2de8, -v151
	v_add_f16_e32 v43, v122, v43
	v_fma_f16 v122, v161, 0x3722, -v110
	v_mul_f16_e64 v154, 0xb5c8, v115
	v_mul_f16_e64 v181, 0x3b29, v44
	v_fma_f16 v135, v160, 0xbbdd, -v175
	v_add_f16_e32 v40, v41, v40
	v_add_f16_e32 v37, v122, v37
	v_fma_f16 v122, v161, 0x3b76, -v154
	v_fma_f16 v41, v160, 0x3722, -v181
	v_add_f16_e64 v135, v135, v119
	v_mul_f16_e32 v119, 0xbbf7, v115
	v_mul_f16_e64 v139, 0x3a62, v115
	v_add_f16_e32 v40, v122, v40
	v_pk_fma_f16 v122, 0x2de839e9, v66, v35 neg_lo:[0,0,1] neg_hi:[0,0,1]
	v_add_f16_e32 v35, v87, v88
	v_add_f16_e32 v36, v41, v36
	v_fma_f16 v41, v161, 0x2de8, -v119
	v_mul_f16_e64 v177, 0x3964, v115
	v_pk_fma_f16 v109, 0x3bb2ba62, v44, v109 op_sel:[0,0,1] op_sel_hi:[1,1,0] neg_lo:[0,1,0] neg_hi:[0,1,0]
	v_add_f16_e32 v35, v122, v35
	v_mul_f16_e64 v169, 0xb1e1, v115
	v_fma_f16 v44, v161, 0xb8d2, -v139
	v_add_f16_e32 v38, v41, v38
	v_fma_f16 v41, v161, 0x39e9, -v177
	v_add_f16_e32 v35, v92, v35
	;; [unrolled: 2-line block ×3, first 2 shown]
	v_pk_fma_f16 v116, 0x3b29b836, v115, v116 op_sel:[0,0,1] op_sel_hi:[1,1,0] neg_lo:[0,1,0] neg_hi:[0,1,0]
	v_add_f16_e64 v44, v41, v135
	v_mul_f16_e64 v183, 0xbbb2, v115
	v_lshrrev_b32_e32 v167, 16, v79
	v_mul_f16_e32 v115, 0x35c8, v120
	v_mul_f16_e64 v135, 0xb836, v120
	v_add_f16_e32 v35, v101, v35
	v_add_f16_e64 v43, v152, v43
	v_fma_f16 v41, v161, 0xb461, -v183
	v_mul_f16_e64 v152, 0x3964, v120
	v_fma_f16 v165, v167, 0x3b76, -v115
	v_fma_f16 v174, v167, 0xbacd, -v135
	v_add_f16_e32 v35, v107, v35
	v_add_f16_e64 v185, v41, v36
	v_fma_f16 v41, v167, 0x39e9, -v152
	v_add_f16_e64 v36, v165, v37
	v_add_f16_e64 v37, v174, v38
	v_mul_f16_e64 v165, 0xba62, v120
	v_mul_f16_e64 v174, 0x3b29, v120
	;; [unrolled: 1-line block ×4, first 2 shown]
	v_add_f16_e32 v35, v109, v35
	v_add_f16_e32 v39, v41, v39
	v_fma_f16 v38, v167, 0xb8d2, -v165
	v_fma_f16 v41, v167, 0x3722, -v174
	;; [unrolled: 1-line block ×3, first 2 shown]
	v_pk_fma_f16 v120, 0x35c8b1e1, v120, v184 op_sel:[0,0,1] op_sel_hi:[1,1,0] neg_lo:[0,1,0] neg_hi:[0,1,0]
	v_fma_f16 v184, v167, 0x2de8, -v182
	v_add_f16_e32 v35, v116, v35
	v_add_f16_e32 v40, v38, v40
	;; [unrolled: 1-line block ×3, first 2 shown]
	v_add_f16_e64 v43, v186, v44
	v_add_f16_e64 v44, v184, v185
	v_add_f16_e32 v38, v120, v35
	v_mul_lo_u16 v35, v32, 17
	global_wb scope:SCOPE_SE
	s_barrier_signal -1
	s_barrier_wait -1
	global_inv scope:SCOPE_SE
	s_and_saveexec_b32 s4, vcc_lo
	s_cbranch_execz .LBB0_7
; %bb.6:
	v_mul_f16_e64 v184, 0xbbdd, v158
	v_mul_f16_e64 v185, 0x3b76, v66
	;; [unrolled: 1-line block ×5, first 2 shown]
	v_add_f16_e64 v173, v173, v184
	v_add_f16_e64 v172, v172, v185
	;; [unrolled: 1-line block ×3, first 2 shown]
	v_mul_f16_e64 v192, 0xb8d2, v159
	v_add_f16_e64 v178, v178, v190
	v_add_f16_e64 v173, v173, v88
	v_mul_f16_e64 v190, 0x3b76, v72
	v_sub_f16_e64 v145, v193, v145
	v_mul_f16_e64 v188, 0x3722, v160
	v_add_f16_e64 v179, v179, v192
	v_add_f16_e64 v172, v172, v173
	v_sub_f16_e64 v148, v190, v148
	v_add_f16_e64 v145, v145, v6
	v_add_f16_e64 v181, v181, v188
	v_mul_f16_e64 v188, 0xbacd, v71
	v_add_f16_e64 v172, v176, v172
	v_mul_f16_e64 v184, 0x39e9, v158
	;; [unrolled: 2-line block ×3, first 2 shown]
	v_sub_f16_e64 v149, v188, v149
	v_add_f16_e64 v172, v178, v172
	v_mul_f16_e64 v185, 0x3722, v158
	v_mul_f16_e64 v173, 0x2de8, v158
	v_add_f16_e64 v148, v183, v148
	v_mul_f16_e64 v194, 0xb461, v158
	v_add_f16_e64 v172, v179, v172
	v_mul_f16_e64 v179, 0xb8d2, v158
	v_mul_f16_e64 v158, 0xbacd, v158
	v_add_f16_e64 v145, v149, v145
	v_mul_f16_e64 v187, 0x3b76, v67
	v_add_f16_e64 v172, v181, v172
	;; [unrolled: 2-line block ×3, first 2 shown]
	v_mul_f16_e64 v189, 0x3722, v67
	v_mul_f16_e64 v191, 0x2de8, v67
	v_add_f16_e64 v148, v148, v172
	v_sub_f16_e64 v149, v181, v150
	v_mul_f16_e64 v172, 0xb8d2, v74
	v_add_f16_e64 v158, v158, v88
	v_mul_f16_e64 v176, 0xb461, v67
	v_mul_f16_e64 v178, 0xb8d2, v67
	v_add_f16_e64 v145, v149, v145
	v_mul_f16_e64 v149, 0x3722, v66
	v_sub_f16_e64 v144, v172, v144
	v_mul_f16_e64 v172, 0x3722, v77
	v_mul_f16_e32 v67, 0xbacd, v67
	v_mul_f16_e64 v183, 0x39e9, v72
	v_add_f16_e64 v149, v164, v149
	v_add_f16_e64 v144, v144, v145
	v_mul_f16_e64 v145, 0x2de8, v155
	v_sub_f16_e64 v147, v172, v147
	v_mul_f16_e64 v172, 0x2de8, v167
	v_add_f16_e64 v149, v149, v158
	v_mul_f16_e64 v181, 0xb8d2, v72
	v_add_f16_e64 v145, v168, v145
	v_add_f16_e64 v144, v147, v144
	;; [unrolled: 1-line block ×3, first 2 shown]
	v_mul_f16_e64 v182, 0xb8d2, v156
	v_mul_f16_e64 v147, 0xb461, v80
	v_add_f16_e64 v145, v145, v149
	v_mul_f16_e64 v164, 0xbbdd, v72
	v_mul_f16_e64 v168, 0xbacd, v72
	v_add_f16_e64 v170, v170, v182
	v_sub_f16_e64 v143, v147, v143
	v_mul_f16_e64 v147, 0x3b76, v159
	v_mul_f16_e64 v182, 0xb461, v72
	v_mul_f16_e32 v72, 0x3722, v72
	v_add_f16_e64 v145, v170, v145
	v_add_f16_e64 v143, v143, v144
	;; [unrolled: 1-line block ×3, first 2 shown]
	v_mul_f16_e64 v144, 0xbbdd, v160
	v_sub_f16_e32 v67, v67, v123
	v_mul_f16_e32 v123, 0x2de8, v79
	v_sub_f16_e32 v72, v72, v124
	v_add_f16_e64 v145, v147, v145
	v_add_f16_e64 v144, v175, v144
	v_add_f16_e32 v67, v67, v6
	v_sub_f16_e64 v123, v123, v140
	v_mul_f16_e64 v140, 0x2de8, v71
	v_mul_f16_e64 v150, 0x2de8, v66
	v_add_f16_e64 v144, v144, v145
	v_mul_f16_e64 v145, 0x39e9, v161
	v_add_f16_e32 v67, v72, v67
	v_sub_f16_e64 v130, v140, v130
	v_mul_f16_e64 v163, 0xb8d2, v66
	v_mul_f16_e64 v158, 0xbbdd, v66
	v_add_f16_e64 v145, v177, v145
	v_mul_f16_e64 v177, 0xb8d2, v73
	v_mul_f16_e64 v149, 0xbacd, v66
	v_mul_f16_e32 v66, 0xb461, v66
	v_add_f16_e64 v67, v130, v67
	v_add_f16_e64 v123, v123, v143
	v_sub_f16_e64 v132, v177, v132
	v_mul_f16_e64 v143, 0x3b76, v74
	v_add_f16_e64 v142, v142, v179
	v_mul_f16_e64 v171, 0xb8d2, v155
	v_mul_f16_e64 v147, 0xbbdd, v155
	;; [unrolled: 1-line block ×5, first 2 shown]
	v_add_f16_e64 v67, v132, v67
	v_sub_f16_e64 v133, v143, v133
	v_mul_f16_e64 v179, 0xbbdd, v77
	v_add_f16_e64 v66, v146, v66
	v_add_f16_e64 v142, v142, v88
	v_mul_f16_e64 v177, 0xbbdd, v156
	v_add_f16_e64 v144, v145, v144
	v_mul_f16_e64 v145, 0xb461, v167
	v_mul_f16_e64 v143, 0xb461, v156
	v_add_f16_e64 v67, v133, v67
	v_mul_f16_e64 v133, 0x3b76, v156
	v_sub_f16_e64 v126, v179, v126
	v_mul_f16_e64 v179, 0x3722, v156
	v_mul_f16_e64 v156, 0xbacd, v156
	v_add_f16_e64 v66, v66, v142
	v_add_f16_e64 v153, v153, v155
	;; [unrolled: 1-line block ×3, first 2 shown]
	v_sub_f16_e64 v96, v178, v96
	v_add_f16_e64 v156, v157, v156
	v_mul_f16_e64 v170, 0x3722, v71
	v_add_f16_e64 v66, v153, v66
	v_add_f16_e64 v144, v145, v144
	v_mul_f16_e64 v145, 0x2de8, v159
	v_add_f16_e64 v148, v172, v148
	v_mul_f16_e64 v172, 0xbbdd, v71
	;; [unrolled: 2-line block ×3, first 2 shown]
	v_mul_f16_e64 v175, 0xb461, v71
	v_mul_f16_e32 v72, 0x39e9, v71
	v_mul_f16_e32 v71, 0x3b76, v71
	v_add_f16_e64 v145, v162, v145
	v_sub_f16_e64 v128, v156, v128
	v_mul_f16_e64 v156, 0x39e9, v160
	v_sub_f16_e64 v98, v182, v98
	v_add_f16_e32 v96, v96, v6
	v_mul_f16_e64 v130, 0x2de8, v73
	v_mul_f16_e64 v132, 0xb461, v73
	;; [unrolled: 1-line block ×4, first 2 shown]
	v_mul_f16_e32 v73, 0xbacd, v73
	v_mul_f16_e64 v142, 0x39e9, v80
	v_add_f16_e64 v66, v145, v66
	v_add_f16_e64 v156, v166, v156
	v_mul_f16_e64 v166, 0xbbdd, v161
	v_add_f16_e32 v96, v98, v96
	v_sub_f16_e32 v71, v71, v99
	v_add_f16_e64 v129, v129, v194
	v_mul_f16_e64 v155, 0xb461, v74
	v_sub_f16_e64 v127, v142, v127
	v_mul_f16_e64 v142, 0x39e9, v74
	v_mul_f16_e64 v157, 0x3722, v74
	;; [unrolled: 1-line block ×3, first 2 shown]
	v_mul_f16_e32 v74, 0x2de8, v74
	v_add_f16_e64 v66, v156, v66
	v_add_f16_e64 v166, v169, v166
	v_add_f16_e32 v71, v71, v96
	v_sub_f16_e32 v73, v73, v100
	v_add_f16_e64 v131, v131, v149
	v_add_f16_e64 v129, v129, v88
	v_add_f16_e32 v67, v126, v67
	v_mul_f16_e64 v145, 0xb8d2, v77
	v_mul_f16_e64 v182, 0x3b76, v77
	;; [unrolled: 1-line block ×3, first 2 shown]
	v_mul_f16_e32 v99, 0x2de8, v77
	v_mul_f16_e32 v77, 0x39e9, v77
	v_add_f16_e64 v66, v166, v66
	v_mul_f16_e64 v166, 0x3722, v167
	v_add_f16_e32 v71, v73, v71
	v_sub_f16_e32 v74, v74, v94
	v_add_f16_e64 v129, v131, v129
	v_add_f16_e64 v136, v136, v140
	v_sub_f16_e64 v55, v176, v55
	v_mul_f16_e64 v126, 0xbacd, v159
	v_mul_f16_e64 v153, 0x39e9, v159
	v_add_f16_e32 v67, v127, v67
	v_mul_f16_e64 v127, 0x3722, v159
	v_mul_f16_e64 v159, 0xbbdd, v159
	v_mul_f16_e32 v96, 0xbacd, v80
	v_add_f16_e64 v166, v174, v166
	v_mul_f16_e64 v174, 0x2de8, v80
	v_mul_f16_e32 v73, 0xb8d2, v80
	v_mul_f16_e32 v94, 0x3b76, v80
	;; [unrolled: 1-line block ×3, first 2 shown]
	v_add_f16_e32 v71, v74, v71
	v_sub_f16_e32 v77, v77, v95
	v_add_f16_e64 v129, v136, v129
	v_add_f16_e64 v138, v138, v179
	v_add_f16_e32 v55, v55, v6
	v_sub_f16_e64 v81, v168, v81
	v_mul_f16_e64 v178, 0xb461, v160
	v_mul_f16_e64 v156, 0x3b76, v160
	;; [unrolled: 1-line block ×4, first 2 shown]
	v_add_f16_e32 v71, v77, v71
	v_sub_f16_e32 v77, v80, v97
	v_add_f16_e64 v80, v138, v129
	v_add_f16_e64 v97, v141, v159
	v_add_f16_e32 v55, v81, v55
	v_sub_f16_e32 v72, v72, v84
	v_mul_f16_e64 v100, 0x3722, v161
	v_mul_f16_e64 v188, 0x2de8, v161
	;; [unrolled: 1-line block ×5, first 2 shown]
	v_mul_f16_e32 v74, 0xbacd, v79
	v_mul_f16_e64 v136, 0x39e9, v79
	v_mul_f16_e64 v179, 0xb8d2, v79
	v_mul_f16_e32 v79, 0x3722, v79
	v_add_f16_e32 v71, v77, v71
	v_add_f16_e32 v77, v97, v80
	v_add_f16_e64 v80, v151, v160
	v_add_f16_e32 v55, v72, v55
	v_sub_f16_e64 v72, v146, v86
	v_add_f16_e64 v81, v112, v173
	v_alignbit_b32 v186, v6, v6, 16
	v_sub_f16_e32 v79, v79, v105
	v_add_f16_e32 v77, v80, v77
	v_add_f16_e64 v80, v154, v161
	v_add_f16_e32 v55, v72, v55
	v_sub_f16_e64 v72, v162, v83
	v_add_f16_e32 v81, v81, v88
	v_add_f16_e64 v83, v113, v158
	v_alignbit_b32 v59, v59, v59, 16
	v_pk_add_f16 v7, v7, v186 op_sel:[0,1] op_sel_hi:[1,0]
	v_add_f16_e32 v71, v79, v71
	v_add_f16_e32 v77, v80, v77
	;; [unrolled: 1-line block ×3, first 2 shown]
	v_sub_f16_e32 v72, v99, v85
	v_add_f16_e32 v79, v83, v81
	v_add_f16_e32 v80, v118, v124
	v_pk_add_f16 v7, v59, v7
	v_sub_f16_e64 v48, v191, v48
	v_add_f16_e32 v55, v72, v55
	v_sub_f16_e32 v72, v94, v82
	v_add_f16_e32 v79, v80, v79
	v_add_f16_e64 v80, v121, v133
	v_pk_add_f16 v7, v24, v7
	v_add_f16_e32 v48, v48, v6
	v_add_f16_e32 v55, v72, v55
	v_sub_f16_e64 v50, v164, v50
	v_add_f16_e32 v72, v80, v79
	v_add_f16_e64 v79, v134, v127
	v_pk_add_f16 v7, v21, v7
	v_mul_f16_e64 v176, 0x39e9, v167
	v_add_f16_e32 v48, v50, v48
	v_sub_f16_e64 v50, v175, v56
	v_add_f16_e32 v72, v79, v72
	v_add_f16_e64 v79, v137, v98
	v_pk_add_f16 v7, v22, v7
	v_sub_f16_e64 v56, v179, v90
	v_sub_f16_e64 v45, v189, v45
	;; [unrolled: 1-line block ×3, first 2 shown]
	v_add_f16_e32 v72, v79, v72
	v_add_f16_e64 v79, v139, v149
	v_pk_add_f16 v7, v19, v7
	v_add_f16_e32 v55, v56, v55
	v_add_f16_e32 v45, v45, v6
	v_sub_f16_e64 v22, v187, v28
	v_add_f16_e32 v56, v79, v72
	v_add_f16_e64 v72, v152, v176
	v_pk_add_f16 v7, v20, v7
	v_add_f16_e32 v45, v46, v45
	v_sub_f16_e64 v46, v172, v49
	v_bfi_b32 v20, 0xffff, v23, v87
	v_add_f16_e32 v49, v72, v56
	v_add_f16_e64 v56, v89, v184
	v_add_f16_e64 v80, v103, v185
	v_pk_add_f16 v7, v17, v7
	v_add_f16_e32 v45, v46, v45
	v_sub_f16_e64 v46, v132, v54
	v_add_f16_e32 v54, v56, v88
	v_add_f16_e64 v56, v91, v150
	v_add_f16_e32 v6, v22, v6
	v_sub_f16_e64 v19, v183, v27
	v_bfi_b32 v23, 0xffff, v29, v122
	v_pk_add_f16 v17, v20, v186
	v_add_f16_e32 v48, v50, v48
	v_sub_f16_e64 v50, v180, v58
	v_add_f16_e32 v58, v80, v88
	v_add_f16_e64 v80, v104, v163
	v_pk_add_f16 v7, v18, v7
	v_add_f16_e32 v45, v46, v45
	v_sub_f16_e64 v46, v142, v57
	v_add_f16_e32 v54, v56, v54
	v_add_f16_e64 v56, v93, v171
	v_add_f16_e32 v6, v19, v6
	v_sub_f16_e64 v19, v170, v30
	v_bfi_b32 v20, 0xffff, v42, v92
	v_pk_add_f16 v17, v23, v17
	v_add_f16_e32 v48, v50, v48
	v_sub_f16_e64 v50, v157, v65
	v_add_f16_e32 v58, v80, v58
	;; [unrolled: 13-line block ×3, first 2 shown]
	v_add_f16_e64 v65, v114, v143
	v_pk_add_f16 v4, v5, v4
	v_add_f16_e32 v45, v46, v45
	v_add_f16_e32 v24, v54, v24
	;; [unrolled: 1-line block ×4, first 2 shown]
	v_sub_f16_e64 v17, v155, v47
	v_bfi_b32 v19, 0xffff, v53, v107
	v_pk_add_f16 v5, v23, v7
	v_add_f16_e32 v48, v50, v48
	v_sub_f16_e32 v50, v73, v76
	v_add_f16_e32 v58, v65, v58
	v_add_f16_e64 v65, v117, v153
	v_pk_add_f16 v2, v2, v4
	v_add_f16_e32 v24, v46, v24
	v_add_f16_e64 v28, v108, v178
	v_add_f16_e32 v6, v17, v6
	v_sub_f16_e64 v7, v145, v51
	v_bfi_b32 v17, 0xffff, v61, v109
	v_pk_add_f16 v4, v19, v5
	v_add_f16_e32 v48, v50, v48
	v_sub_f16_e64 v50, v136, v78
	v_add_f16_e32 v58, v65, v58
	v_add_f16_e64 v65, v125, v156
	v_pk_add_f16 v2, v3, v2
	v_mul_f16_e64 v140, 0x3b76, v167
	v_add_f16_e32 v24, v28, v24
	v_add_f16_e32 v18, v110, v100
	v_bfi_b32 v5, 0xffff, v63, v116
	v_add_f16_e32 v6, v7, v6
	v_sub_f16_e32 v7, v96, v60
	v_pk_add_f16 v3, v17, v4
	v_mul_f16_e64 v95, 0xbacd, v167
	v_add_f16_e32 v48, v50, v48
	v_add_f16_e32 v50, v65, v58
	v_add_f16_e64 v58, v119, v188
	v_sub_f16_e64 v21, v174, v69
	v_mul_f16_e64 v167, 0xb8d2, v167
	v_pk_add_f16 v0, v0, v2
	v_add_f16_e32 v18, v18, v24
	v_add_f16_e64 v4, v115, v140
	v_bfi_b32 v17, 0xffff, v64, v120
	v_add_f16_e32 v6, v7, v6
	v_pk_add_f16 v2, v5, v3
	v_sub_f16_e64 v3, v131, v62
	v_add_f16_e32 v50, v58, v50
	v_add_f16_e64 v56, v135, v95
	v_add_f16_e32 v21, v21, v45
	v_sub_f16_e32 v22, v74, v70
	v_add_f16_e64 v81, v165, v167
	v_and_b32_e32 v5, 0xffff, v35
	v_pk_add_f16 v0, v1, v0
	v_add_f16_e32 v4, v4, v18
	v_pk_add_f16 v1, v17, v2
	v_add_f16_e32 v2, v3, v6
	v_add_f16_e32 v50, v56, v50
	;; [unrolled: 1-line block ×3, first 2 shown]
	v_add_f16_e64 v66, v166, v66
	v_add_f16_e32 v77, v81, v77
	v_add_lshl_u32 v5, v25, v5, 2
	v_pk_add_f16 v0, v26, v0
	v_add_f16_e64 v17, v128, v67
	v_alignbit_b32 v4, v4, v1, 16
	v_pack_b32_f16 v1, v2, v1
	v_pack_b32_f16 v2, v48, v49
	v_pack_b32_f16 v3, v3, v50
	v_pack_b32_f16 v6, v71, v66
	v_pack_b32_f16 v7, v55, v77
	ds_store_b32 v5, v0
	ds_store_2addr_b32 v5, v1, v4 offset0:1 offset1:2
	ds_store_2addr_b32 v5, v3, v2 offset0:3 offset1:4
	;; [unrolled: 1-line block ×3, first 2 shown]
	v_pack_b32_f16 v0, v123, v148
	v_pack_b32_f16 v1, v17, v144
	v_perm_b32 v2, v43, v16, 0x5040100
	v_perm_b32 v3, v44, v15, 0x5040100
	;; [unrolled: 1-line block ×8, first 2 shown]
	ds_store_2addr_b32 v5, v1, v0 offset0:7 offset1:8
	ds_store_2addr_b32 v5, v3, v2 offset0:9 offset1:10
	;; [unrolled: 1-line block ×5, first 2 shown]
.LBB0_7:
	s_wait_alu 0xfffe
	s_or_b32 exec_lo, exec_lo, s4
	v_and_b32_e32 v0, 0xff, v32
	v_add_nc_u16 v1, v32, 51
	v_add_nc_u16 v2, v32, 0x66
	s_load_b128 s[4:7], s[2:3], 0x0
	global_wb scope:SCOPE_SE
	s_wait_dscnt 0x0
	v_mul_lo_u16 v0, 0xf1, v0
	v_and_b32_e32 v3, 0xff, v1
	v_and_b32_e32 v4, 0xff, v2
	s_wait_kmcnt 0x0
	s_barrier_signal -1
	s_barrier_wait -1
	v_lshrrev_b16 v23, 12, v0
	v_mul_lo_u16 v0, 0xf1, v3
	v_mul_lo_u16 v3, 0xf1, v4
	global_inv scope:SCOPE_SE
	v_add_lshl_u32 v42, v25, v32, 2
	v_mul_lo_u16 v4, v23, 17
	v_lshrrev_b16 v24, 12, v0
	v_lshrrev_b16 v26, 12, v3
	v_lshlrev_b32_e32 v45, 5, v32
	v_add_nc_u32_e32 v30, 0x400, v42
	v_sub_nc_u16 v27, v32, v4
	v_mul_lo_u16 v0, v24, 17
	v_mul_lo_u16 v3, v26, 17
	v_and_b32_e32 v24, 0xffff, v24
	v_and_b32_e32 v26, 0xffff, v26
	v_lshlrev_b16 v4, 1, v27
	v_sub_nc_u16 v0, v1, v0
	v_sub_nc_u16 v1, v2, v3
	v_mad_u16 v23, v23, 51, v27
	v_mul_u32_u24_e32 v24, 51, v24
	v_and_b32_e32 v2, 0xfe, v4
	v_and_b32_e32 v28, 0xff, v0
	;; [unrolled: 1-line block ×4, first 2 shown]
	v_mul_u32_u24_e32 v26, 51, v26
	v_lshlrev_b32_e32 v0, 2, v2
	v_lshlrev_b32_e32 v1, 3, v28
	;; [unrolled: 1-line block ×3, first 2 shown]
	v_add_lshl_u32 v46, v25, v23, 2
	v_add_nc_u32_e32 v23, v24, v28
	s_clause 0x2
	global_load_b64 v[21:22], v0, s[0:1]
	global_load_b64 v[19:20], v1, s[0:1]
	;; [unrolled: 1-line block ×3, first 2 shown]
	ds_load_2addr_b32 v[0:1], v42 offset1:51
	ds_load_2addr_b32 v[2:3], v42 offset0:102 offset1:153
	ds_load_2addr_b32 v[4:5], v42 offset0:204 offset1:255
	ds_load_b32 v34, v42 offset:1632
	ds_load_2addr_b32 v[6:7], v30 offset0:50 offset1:101
	v_add_nc_u32_e32 v24, v26, v29
	v_add_lshl_u32 v48, v25, v23, 2
	global_wb scope:SCOPE_SE
	s_wait_loadcnt_dscnt 0x0
	s_barrier_signal -1
	s_barrier_wait -1
	v_add_lshl_u32 v47, v25, v24, 2
	global_inv scope:SCOPE_SE
	v_lshrrev_b32_e32 v55, 16, v0
	v_lshrrev_b32_e32 v56, 16, v3
	;; [unrolled: 1-line block ×15, first 2 shown]
	v_mul_f16_e32 v23, v56, v54
	v_mul_f16_e32 v24, v3, v54
	;; [unrolled: 1-line block ×12, first 2 shown]
	v_fma_f16 v3, v3, v21, -v23
	v_fmac_f16_e32 v24, v56, v21
	v_fma_f16 v6, v6, v22, -v25
	v_fmac_f16_e32 v26, v61, v22
	;; [unrolled: 2-line block ×6, first 2 shown]
	v_add_f16_e32 v27, v3, v6
	v_sub_f16_e32 v28, v24, v26
	v_add_f16_e32 v34, v55, v24
	v_add_f16_e32 v24, v24, v26
	v_add_f16_e32 v59, v4, v7
	v_sub_f16_e32 v60, v29, v64
	v_add_f16_e32 v61, v57, v29
	v_add_f16_e32 v29, v29, v64
	;; [unrolled: 4-line block ×4, first 2 shown]
	v_fma_f16 v0, -0.5, v27, v0
	v_fmac_f16_e32 v55, -0.5, v24
	v_sub_f16_e32 v4, v4, v7
	v_fmac_f16_e32 v1, -0.5, v59
	v_fmac_f16_e32 v57, -0.5, v29
	v_sub_f16_e32 v5, v5, v23
	v_fmac_f16_e32 v2, -0.5, v63
	v_fmac_f16_e32 v58, -0.5, v66
	v_add_f16_e32 v6, v25, v6
	v_add_f16_e32 v25, v34, v26
	;; [unrolled: 1-line block ×6, first 2 shown]
	v_fmamk_f16 v27, v28, 0x3aee, v0
	v_fmac_f16_e32 v0, 0xbaee, v28
	v_fmamk_f16 v28, v3, 0xbaee, v55
	v_fmac_f16_e32 v55, 0x3aee, v3
	v_fmamk_f16 v3, v60, 0x3aee, v1
	v_fmamk_f16 v29, v4, 0xbaee, v57
	v_fmac_f16_e32 v1, 0xbaee, v60
	v_fmac_f16_e32 v57, 0x3aee, v4
	v_fmamk_f16 v4, v65, 0x3aee, v2
	v_fmac_f16_e32 v2, 0xbaee, v65
	v_fmamk_f16 v34, v5, 0xbaee, v58
	v_fmac_f16_e32 v58, 0x3aee, v5
	v_pack_b32_f16 v5, v6, v25
	v_pack_b32_f16 v6, v7, v24
	;; [unrolled: 1-line block ×9, first 2 shown]
	ds_store_2addr_b32 v46, v5, v23 offset1:17
	ds_store_b32 v46, v0 offset:136
	ds_store_2addr_b32 v48, v6, v3 offset1:17
	ds_store_b32 v48, v1 offset:136
	;; [unrolled: 2-line block ×3, first 2 shown]
	global_wb scope:SCOPE_SE
	s_wait_dscnt 0x0
	s_barrier_signal -1
	s_barrier_wait -1
	global_inv scope:SCOPE_SE
	s_clause 0x1
	global_load_b128 v[0:3], v45, s[0:1] offset:136
	global_load_b128 v[4:7], v45, s[0:1] offset:152
	ds_load_2addr_b32 v[24:25], v42 offset1:51
	ds_load_2addr_b32 v[26:27], v42 offset0:102 offset1:153
	ds_load_2addr_b32 v[28:29], v42 offset0:204 offset1:255
	;; [unrolled: 1-line block ×3, first 2 shown]
	ds_load_b32 v23, v42 offset:1632
	v_lshl_add_u32 v34, v32, 2, v33
	v_lshl_add_u32 v45, v32, 2, v33
	s_delay_alu instid0(VALU_DEP_2)
	v_add_nc_u32_e32 v69, 0x200, v34
	v_add_nc_u32_e32 v70, 0x400, v34
	s_wait_dscnt 0x4
	v_lshrrev_b32_e32 v30, 16, v25
	s_wait_dscnt 0x3
	v_lshrrev_b32_e32 v65, 16, v26
	;; [unrolled: 2-line block ×3, first 2 shown]
	v_lshrrev_b32_e32 v68, 16, v29
	s_wait_dscnt 0x1
	v_lshrrev_b32_e32 v72, 16, v63
	v_lshrrev_b32_e32 v73, 16, v64
	s_wait_dscnt 0x0
	v_lshrrev_b32_e32 v74, 16, v23
	v_lshrrev_b32_e32 v66, 16, v27
	;; [unrolled: 1-line block ×3, first 2 shown]
	s_wait_loadcnt 0x1
	v_lshrrev_b32_e32 v62, 16, v0
	v_lshrrev_b32_e32 v61, 16, v1
	;; [unrolled: 1-line block ×3, first 2 shown]
	s_wait_loadcnt 0x0
	v_lshrrev_b32_e32 v58, 16, v4
	v_lshrrev_b32_e32 v55, 16, v5
	;; [unrolled: 1-line block ×5, first 2 shown]
	v_mul_f16_e32 v75, v30, v62
	v_mul_f16_e32 v76, v25, v62
	;; [unrolled: 1-line block ×16, first 2 shown]
	v_fma_f16 v25, v25, v0, -v75
	v_fmac_f16_e32 v76, v30, v0
	v_fma_f16 v26, v26, v1, -v77
	v_fmac_f16_e32 v78, v65, v1
	v_fma_f16 v28, v28, v3, -v81
	v_fma_f16 v29, v29, v4, -v83
	v_fma_f16 v30, v63, v5, -v85
	v_fma_f16 v23, v23, v7, -v89
	v_fmac_f16_e32 v90, v74, v7
	v_fma_f16 v63, v64, v6, -v87
	v_fmac_f16_e32 v88, v73, v6
	v_fma_f16 v27, v27, v2, -v79
	v_fmac_f16_e32 v80, v66, v2
	v_fmac_f16_e32 v82, v67, v3
	;; [unrolled: 1-line block ×4, first 2 shown]
	v_add_f16_e32 v66, v25, v23
	v_add_f16_e32 v68, v76, v90
	;; [unrolled: 1-line block ×4, first 2 shown]
	v_sub_f16_e32 v25, v25, v23
	v_sub_f16_e32 v64, v28, v29
	v_add_f16_e32 v73, v27, v30
	v_add_f16_e32 v77, v80, v86
	v_sub_f16_e32 v74, v76, v90
	v_sub_f16_e32 v26, v26, v63
	;; [unrolled: 1-line block ×4, first 2 shown]
	v_add_f16_e32 v76, v28, v29
	v_add_f16_e32 v78, v82, v84
	v_mul_f16_e32 v79, 0x3924, v25
	v_mul_f16_e32 v85, 0xb924, v64
	v_add_f16_e32 v91, v67, v66
	v_add_f16_e32 v92, v72, v68
	v_mul_f16_e32 v93, 0x3be1, v64
	v_sub_f16_e32 v27, v27, v30
	v_sub_f16_e32 v30, v80, v86
	v_mul_f16_e32 v86, 0xb924, v75
	v_fmac_f16_e32 v79, 0x3be1, v26
	v_fmac_f16_e32 v85, 0x3be1, v25
	v_add_f16_e32 v95, v76, v91
	v_add_f16_e32 v96, v78, v92
	v_fma_f16 v93, v26, 0xb924, -v93
	v_add_f16_e32 v91, v73, v91
	v_add_f16_e32 v92, v77, v92
	v_add_f16_e32 v89, v64, v25
	v_fmac_f16_e32 v86, 0x3be1, v74
	v_fmac_f16_e32 v79, 0x3aee, v27
	;; [unrolled: 1-line block ×4, first 2 shown]
	v_add_f16_e32 v27, v28, v91
	v_add_f16_e32 v28, v82, v92
	v_mul_f16_e32 v80, 0x3924, v74
	v_add_f16_e32 v90, v75, v74
	v_mul_f16_e32 v94, 0x3be1, v75
	v_sub_f16_e32 v89, v89, v26
	v_fmac_f16_e32 v86, 0xbaee, v30
	v_fmac_f16_e32 v85, 0x3579, v26
	v_add_f16_e32 v26, v29, v27
	v_add_f16_e32 v27, v84, v28
	v_fmamk_f16 v81, v66, 0x3a21, v24
	v_fmamk_f16 v83, v68, 0x3a21, v71
	;; [unrolled: 1-line block ×4, first 2 shown]
	v_add_f16_e32 v23, v73, v24
	v_add_f16_e32 v65, v77, v71
	v_fmac_f16_e32 v80, 0x3be1, v63
	v_sub_f16_e32 v90, v90, v63
	v_fma_f16 v94, v63, 0xb924, -v94
	v_fmac_f16_e32 v79, 0x3579, v64
	v_fmac_f16_e32 v86, 0x3579, v63
	v_add_f16_e32 v63, v26, v24
	v_add_f16_e32 v64, v27, v71
	v_fmac_f16_e32 v24, 0x3a21, v67
	v_fmac_f16_e32 v71, 0x3a21, v72
	;; [unrolled: 1-line block ×9, first 2 shown]
	v_fmac_f16_e32 v81, -0.5, v73
	v_fmac_f16_e32 v83, -0.5, v77
	;; [unrolled: 1-line block ×4, first 2 shown]
	v_fmac_f16_e32 v94, 0x3aee, v30
	v_fmac_f16_e32 v24, -0.5, v73
	v_fmac_f16_e32 v71, -0.5, v77
	v_fmac_f16_e32 v80, 0x3579, v75
	v_fmac_f16_e32 v81, 0xbb84, v76
	;; [unrolled: 1-line block ×5, first 2 shown]
	v_fmac_f16_e32 v23, -0.5, v95
	v_fmac_f16_e32 v65, -0.5, v96
	v_fmac_f16_e32 v93, 0x3579, v25
	v_fmac_f16_e32 v94, 0x3579, v74
	;; [unrolled: 1-line block ×4, first 2 shown]
	v_add_f16_e32 v29, v80, v81
	v_sub_f16_e32 v75, v83, v79
	v_add_f16_e32 v30, v86, v87
	v_sub_f16_e32 v74, v88, v85
	v_mul_f16_e32 v97, 0x3aee, v89
	v_mul_f16_e32 v98, 0x3aee, v90
	v_fmac_f16_e32 v23, 0x3aee, v90
	v_fmac_f16_e32 v65, 0xbaee, v89
	v_add_f16_e32 v24, v94, v24
	v_sub_f16_e32 v73, v71, v93
	v_fma_f16 v26, -2.0, v80, v29
	v_fma_f16 v66, 2.0, v79, v75
	v_fma_f16 v25, -2.0, v86, v30
	v_fma_f16 v68, 2.0, v85, v74
	;; [unrolled: 2-line block ×4, first 2 shown]
	v_pack_b32_f16 v71, v63, v64
	v_pack_b32_f16 v77, v29, v75
	;; [unrolled: 1-line block ×9, first 2 shown]
	ds_store_b32 v45, v71
	ds_store_2addr_b32 v34, v77, v78 offset0:51 offset1:102
	ds_store_2addr_b32 v70, v80, v81 offset0:101 offset1:152
	;; [unrolled: 1-line block ×4, first 2 shown]
	global_wb scope:SCOPE_SE
	s_wait_dscnt 0x0
	s_barrier_signal -1
	s_barrier_wait -1
	global_inv scope:SCOPE_SE
	s_and_saveexec_b32 s2, vcc_lo
	s_cbranch_execz .LBB0_9
; %bb.8:
	global_load_b32 v71, v31, s[8:9] offset:1836
	s_add_nc_u64 s[0:1], s[8:9], 0x72c
	s_clause 0xf
	global_load_b32 v91, v31, s[0:1] offset:108
	global_load_b32 v92, v31, s[0:1] offset:216
	;; [unrolled: 1-line block ×16, first 2 shown]
	ds_load_b32 v72, v45
	s_wait_dscnt 0x0
	v_lshrrev_b32_e32 v77, 16, v72
	s_wait_loadcnt 0xf
	v_lshrrev_b32_e32 v107, 16, v91
	s_wait_loadcnt 0xe
	;; [unrolled: 2-line block ×12, first 2 shown]
	v_lshrrev_b32_e32 v118, 16, v102
	v_lshrrev_b32_e32 v78, 16, v71
	s_wait_loadcnt 0x3
	v_lshrrev_b32_e32 v119, 16, v103
	s_wait_loadcnt 0x2
	;; [unrolled: 2-line block ×4, first 2 shown]
	v_lshrrev_b32_e32 v122, 16, v106
	v_mul_f16_e32 v79, v77, v78
	v_mul_f16_e32 v78, v72, v78
	s_delay_alu instid0(VALU_DEP_2) | instskip(NEXT) | instid1(VALU_DEP_2)
	v_fma_f16 v72, v72, v71, -v79
	v_fmac_f16_e32 v78, v77, v71
	s_delay_alu instid0(VALU_DEP_1)
	v_pack_b32_f16 v71, v72, v78
	ds_store_b32 v45, v71
	ds_load_2addr_b32 v[71:72], v34 offset0:27 offset1:54
	ds_load_2addr_b32 v[77:78], v34 offset0:81 offset1:108
	;; [unrolled: 1-line block ×8, first 2 shown]
	s_wait_dscnt 0x7
	v_lshrrev_b32_e32 v123, 16, v71
	v_lshrrev_b32_e32 v125, 16, v72
	s_wait_dscnt 0x6
	v_lshrrev_b32_e32 v127, 16, v77
	v_lshrrev_b32_e32 v129, 16, v78
	;; [unrolled: 3-line block ×5, first 2 shown]
	v_mul_f16_e32 v124, v71, v107
	v_mul_f16_e32 v126, v72, v108
	s_wait_dscnt 0x2
	v_lshrrev_b32_e32 v143, 16, v85
	v_lshrrev_b32_e32 v145, 16, v86
	s_wait_dscnt 0x1
	v_lshrrev_b32_e32 v147, 16, v87
	v_lshrrev_b32_e32 v149, 16, v88
	;; [unrolled: 3-line block ×3, first 2 shown]
	v_mul_f16_e32 v107, v123, v107
	v_mul_f16_e32 v108, v125, v108
	v_mul_f16_e64 v128, v77, v109
	v_mul_f16_e64 v130, v78, v110
	v_mul_f16_e32 v109, v127, v109
	v_mul_f16_e64 v110, v129, v110
	v_mul_f16_e64 v132, v79, v111
	;; [unrolled: 1-line block ×19, first 2 shown]
	v_fmac_f16_e32 v124, v123, v91
	v_fmac_f16_e32 v126, v125, v92
	v_mul_f16_e64 v117, v143, v117
	v_mul_f16_e64 v118, v145, v118
	;; [unrolled: 1-line block ×6, first 2 shown]
	v_fma_f16 v71, v71, v91, -v107
	v_fma_f16 v72, v72, v92, -v108
	v_fmac_f16_e64 v128, v127, v93
	v_fmac_f16_e64 v130, v129, v94
	v_fma_f16 v77, v77, v93, -v109
	v_fma_f16 v78, v78, v94, -v110
	v_fmac_f16_e64 v132, v131, v95
	v_fmac_f16_e64 v134, v133, v96
	;; [unrolled: 4-line block ×5, first 2 shown]
	v_fmac_f16_e64 v148, v147, v103
	v_fmac_f16_e64 v150, v149, v104
	v_fmac_f16_e64 v152, v151, v105
	v_fmac_f16_e64 v154, v153, v106
	v_fma_f16 v85, v85, v101, -v117
	v_fma_f16 v86, v86, v102, -v118
	;; [unrolled: 1-line block ×6, first 2 shown]
	v_pack_b32_f16 v71, v71, v124
	v_pack_b32_f16 v72, v72, v126
	;; [unrolled: 1-line block ×16, first 2 shown]
	ds_store_2addr_b32 v34, v71, v72 offset0:27 offset1:54
	ds_store_2addr_b32 v34, v77, v78 offset0:81 offset1:108
	;; [unrolled: 1-line block ×8, first 2 shown]
.LBB0_9:
	s_wait_alu 0xfffe
	s_or_b32 exec_lo, exec_lo, s2
	global_wb scope:SCOPE_SE
	s_wait_dscnt 0x0
	s_barrier_signal -1
	s_barrier_wait -1
	global_inv scope:SCOPE_SE
	s_and_saveexec_b32 s0, vcc_lo
	s_cbranch_execz .LBB0_11
; %bb.10:
	v_add_nc_u32_e32 v9, 0x200, v45
	v_add_nc_u32_e32 v10, 0x400, v45
	ds_load_b32 v63, v45
	ds_load_2addr_b32 v[29:30], v45 offset0:27 offset1:54
	ds_load_2addr_b32 v[23:24], v45 offset0:81 offset1:108
	;; [unrolled: 1-line block ×8, first 2 shown]
	s_wait_dscnt 0x8
	v_lshrrev_b32_e32 v64, 16, v63
	s_wait_dscnt 0x7
	v_lshrrev_b32_e32 v75, 16, v29
	v_lshrrev_b32_e32 v74, 16, v30
	s_wait_dscnt 0x6
	v_lshrrev_b32_e32 v65, 16, v23
	;; [unrolled: 3-line block ×8, first 2 shown]
	v_lshrrev_b32_e32 v38, 16, v10
.LBB0_11:
	s_wait_alu 0xfffe
	s_or_b32 exec_lo, exec_lo, s0
	global_wb scope:SCOPE_SE
	s_barrier_signal -1
	s_barrier_wait -1
	global_inv scope:SCOPE_SE
	s_and_saveexec_b32 s0, vcc_lo
	s_cbranch_execz .LBB0_13
; %bb.12:
	v_add_f16_e64 v182, v38, v75
	v_sub_f16_e32 v78, v29, v10
	v_add_f16_e64 v180, v36, v74
	v_sub_f16_e32 v77, v30, v9
	v_add_f16_e64 v178, v37, v65
	v_mul_f16_e64 v102, 0xbbdd, v182
	v_sub_f16_e32 v70, v23, v12
	v_mul_f16_e64 v103, 0x3b76, v180
	v_add_f16_e64 v175, v39, v73
	v_mul_f16_e64 v104, 0xbacd, v178
	v_fmamk_f16 v72, v78, 0x31e1, v102
	v_sub_f16_e32 v69, v24, v11
	v_fmamk_f16 v79, v77, 0xb5c8, v103
	v_add_f16_e64 v136, v40, v76
	v_mul_f16_e64 v105, 0x39e9, v175
	v_add_f16_e32 v80, v64, v72
	v_fmamk_f16 v81, v70, 0x3836, v104
	v_sub_f16_e64 v171, v75, v38
	v_sub_f16_e32 v71, v27, v14
	v_mul_f16_e64 v110, 0xb8d2, v136
	v_add_f16_e32 v80, v79, v80
	v_add_f16_e32 v79, v10, v29
	v_fmamk_f16 v82, v69, 0xb964, v105
	v_sub_f16_e64 v172, v74, v36
	v_mul_f16_e64 v107, 0xb1e1, v171
	v_add_f16_e32 v80, v81, v80
	v_add_f16_e64 v140, v41, v67
	v_fmamk_f16 v83, v71, 0x3a62, v110
	v_add_f16_e32 v81, v9, v30
	v_mul_f16_e64 v101, 0x35c8, v172
	v_add_f16_e32 v80, v82, v80
	v_fmamk_f16 v82, v79, 0xbbdd, v107
	v_sub_f16_e64 v183, v65, v37
	v_sub_f16_e32 v72, v28, v13
	v_mul_f16_e64 v111, 0x3722, v140
	v_add_f16_e32 v85, v83, v80
	v_add_f16_e64 v188, v43, v68
	v_add_f16_e32 v83, v63, v82
	v_fmamk_f16 v86, v81, 0x3b76, v101
	v_add_f16_e32 v82, v12, v23
	v_mul_f16_e64 v98, 0xb836, v183
	v_sub_f16_e64 v184, v73, v39
	v_fmamk_f16 v84, v72, 0xbb29, v111
	v_mul_f16_e64 v106, 0xb461, v188
	v_sub_f16_e32 v80, v25, v16
	v_add_f16_e32 v86, v86, v83
	v_fmamk_f16 v87, v82, 0xbacd, v98
	v_add_f16_e32 v83, v11, v24
	v_mul_f16_e64 v99, 0x3964, v184
	v_sub_f16_e64 v185, v76, v40
	v_add_f16_e32 v85, v84, v85
	v_fmamk_f16 v88, v80, 0x3bb2, v106
	v_add_f16_e32 v86, v87, v86
	v_fmamk_f16 v87, v83, 0x39e9, v99
	v_add_f16_e32 v84, v14, v27
	v_mul_f16_e64 v100, 0xba62, v185
	v_add_f16_e32 v85, v88, v85
	v_mul_f16_e64 v129, 0xbacd, v182
	v_add_f16_e32 v87, v87, v86
	v_sub_f16_e64 v191, v67, v41
	v_fmamk_f16 v88, v84, 0xb8d2, v100
	v_mul_f16_e64 v117, 0x3722, v180
	v_sub_f16_e64 v189, v68, v43
	v_mul_f16_e64 v119, 0x2de8, v178
	v_mul_f16_e64 v108, 0x3b29, v191
	v_add_f16_e32 v89, v88, v87
	v_fma_f16 v88, 0x3836, v78, v129
	v_add_f16_e32 v87, v13, v28
	v_fmamk_f16 v91, v77, 0xbb29, v117
	v_add_f16_e64 v190, v44, v66
	v_mul_f16_e64 v109, 0xbbb2, v189
	v_add_f16_e32 v90, v64, v88
	v_fmamk_f16 v92, v87, 0x3722, v108
	v_add_f16_e32 v88, v16, v25
	v_mul_f16_e64 v121, 0xb8d2, v175
	v_mul_f16_e64 v128, 0x2de8, v190
	v_add_f16_e32 v90, v91, v90
	v_fmamk_f16 v91, v70, 0x3bf7, v119
	v_sub_f16_e32 v86, v26, v15
	v_add_f16_e32 v89, v92, v89
	v_fmamk_f16 v92, v88, 0xb461, v109
	v_mul_f16_e64 v122, 0x3b76, v136
	v_add_f16_e32 v90, v91, v90
	v_fmamk_f16 v91, v69, 0xba62, v121
	v_sub_f16_e64 v193, v66, v44
	v_fma_f16 v93, 0xbbf7, v86, v128
	v_add_f16_e32 v92, v92, v89
	v_mul_f16_e64 v123, 0xbbdd, v140
	v_add_f16_e32 v90, v91, v90
	v_fmamk_f16 v91, v71, 0x35c8, v122
	v_add_f16_e32 v89, v15, v26
	v_mul_f16_e64 v118, 0x3bf7, v193
	v_mul_f16_e64 v131, 0xb836, v171
	v_add_f16_e32 v85, v93, v85
	v_add_f16_e32 v90, v91, v90
	v_fmamk_f16 v91, v72, 0x31e1, v123
	v_mul_f16_e64 v126, 0x39e9, v188
	v_fmamk_f16 v93, v89, 0x2de8, v118
	v_fma_f16 v94, 0xbacd, v79, v131
	v_mul_f16_e64 v132, 0x3b29, v172
	v_add_f16_e32 v91, v91, v90
	v_fmamk_f16 v95, v80, 0xb964, v126
	v_add_f16_e32 v90, v93, v92
	v_add_f16_e32 v92, v63, v94
	v_fma_f16 v93, 0x3722, v81, v132
	v_mul_f16_e64 v133, 0xbbf7, v183
	v_mul_f16_e64 v124, 0xb8d2, v182
	v_add_f16_e32 v91, v95, v91
	v_mul_f16_e64 v160, 0x3a62, v184
	v_add_f16_e32 v92, v93, v92
	v_fma_f16 v93, 0x2de8, v82, v133
	v_fmamk_f16 v95, v78, 0x3a62, v124
	v_mul_f16_e64 v112, 0xb461, v180
	v_mul_f16_e64 v162, 0xb5c8, v185
	;; [unrolled: 1-line block ×3, first 2 shown]
	v_add_f16_e32 v92, v93, v92
	v_fma_f16 v93, 0xb8d2, v83, v160
	v_add_f16_e32 v95, v64, v95
	v_fmamk_f16 v96, v77, 0xbbb2, v112
	v_mul_f16_e64 v127, 0xb461, v190
	v_mul_f16_e64 v164, 0xb1e1, v191
	v_add_f16_e32 v92, v93, v92
	v_fma_f16 v93, 0x3b76, v84, v162
	v_add_f16_e32 v95, v96, v95
	v_fmamk_f16 v96, v70, 0x35c8, v113
	v_mul_f16_e64 v114, 0xbacd, v175
	v_fmamk_f16 v94, v86, 0x3bb2, v127
	v_add_f16_e32 v92, v93, v92
	v_fma_f16 v93, 0xbbdd, v87, v164
	v_mul_f16_e64 v173, 0x3964, v189
	v_add_f16_e32 v95, v96, v95
	v_fmamk_f16 v96, v69, 0x3836, v114
	v_mul_f16_e64 v115, 0x2de8, v136
	v_add_f16_e32 v92, v93, v92
	v_fma_f16 v93, 0x39e9, v88, v173
	v_add_f16_e32 v91, v94, v91
	v_add_f16_e32 v94, v96, v95
	v_fmamk_f16 v95, v71, 0xbbf7, v115
	v_mul_f16_e64 v116, 0x39e9, v140
	v_mul_f16_e64 v135, 0xbbb2, v193
	;; [unrolled: 1-line block ×3, first 2 shown]
	v_add_f16_e32 v92, v93, v92
	v_add_f16_e32 v93, v95, v94
	v_fmamk_f16 v94, v72, 0x3964, v116
	v_mul_f16_e64 v120, 0xbbdd, v188
	v_fma_f16 v95, 0xb461, v89, v135
	v_fma_f16 v96, 0xb8d2, v79, v149
	v_mul_f16_e64 v151, 0x3bb2, v172
	v_add_f16_e32 v93, v94, v93
	v_fmamk_f16 v94, v80, 0x31e1, v120
	v_add_f16_e32 v92, v95, v92
	v_add_f16_e32 v95, v63, v96
	v_fma_f16 v96, 0xb461, v81, v151
	v_mul_f16_e64 v134, 0xb5c8, v183
	v_mul_f16_e64 v165, 0xb461, v182
	v_add_f16_e32 v93, v94, v93
	v_mul_f16_e64 v155, 0xb836, v184
	v_add_f16_e32 v94, v96, v95
	v_fma_f16 v95, 0x3b76, v82, v134
	v_fma_f16 v97, 0x3bb2, v78, v165
	v_mul_f16_e64 v166, 0xbacd, v180
	v_mul_f16_e64 v156, 0x3bf7, v185
	;; [unrolled: 1-line block ×3, first 2 shown]
	v_add_f16_e32 v94, v95, v94
	v_fma_f16 v95, 0xbacd, v83, v155
	v_add_f16_e32 v97, v64, v97
	v_fma_f16 v130, 0xb836, v77, v166
	v_mul_f16_e64 v125, 0x3722, v190
	v_mul_f16_e64 v157, 0xb964, v191
	v_add_f16_e32 v94, v95, v94
	v_fma_f16 v95, 0x2de8, v84, v156
	v_add_f16_e64 v97, v130, v97
	v_fma_f16 v130, 0xb964, v70, v167
	v_mul_f16_e64 v168, 0x3722, v175
	v_fmamk_f16 v96, v86, 0xbb29, v125
	v_add_f16_e32 v94, v95, v94
	v_fma_f16 v95, 0x39e9, v87, v157
	v_mul_f16_e64 v158, 0xb1e1, v189
	v_add_f16_e64 v97, v130, v97
	v_fma_f16 v130, 0x3b29, v69, v168
	v_mul_f16_e64 v169, 0xbbdd, v136
	v_add_f16_e32 v94, v95, v94
	v_fma_f16 v95, 0xbbdd, v88, v158
	v_add_f16_e32 v93, v96, v93
	v_add_f16_e64 v96, v130, v97
	v_fma_f16 v97, 0x31e1, v71, v169
	v_mul_f16_e64 v170, 0x2de8, v140
	v_mul_f16_e64 v176, 0x3b29, v193
	;; [unrolled: 1-line block ×3, first 2 shown]
	v_add_f16_e32 v94, v95, v94
	v_add_f16_e32 v95, v97, v96
	v_fma_f16 v96, 0xbbf7, v72, v170
	v_mul_f16_e64 v139, 0x3b76, v188
	v_fma_f16 v97, 0x3722, v89, v176
	v_fma_f16 v130, 0xb461, v79, v177
	v_mul_f16_e64 v141, 0x3836, v172
	v_add_f16_e32 v95, v96, v95
	v_fma_f16 v96, 0x35c8, v80, v139
	v_add_f16_e32 v94, v97, v94
	v_add_f16_e64 v97, v63, v130
	v_fma_f16 v137, 0xbacd, v81, v141
	v_mul_f16_e64 v130, 0x3964, v183
	v_mul_f16_e64 v186, 0x2de8, v182
	v_add_f16_e32 v95, v96, v95
	v_mul_f16_e64 v152, 0xbbdd, v180
	v_add_f16_e64 v96, v137, v97
	v_fma_f16 v97, 0x39e9, v82, v130
	v_mul_f16_e64 v137, 0xbb29, v184
	v_fma_f16 v142, 0x3bf7, v78, v186
	v_mul_f16_e64 v138, 0xb1e1, v185
	v_fma_f16 v145, 0x31e1, v77, v152
	v_add_f16_e32 v96, v97, v96
	v_fma_f16 v97, 0x3722, v83, v137
	v_add_f16_e64 v144, v64, v142
	v_mul_f16_e64 v154, 0xb461, v178
	v_mul_f16_e64 v150, 0xb8d2, v190
	;; [unrolled: 1-line block ×3, first 2 shown]
	v_add_f16_e32 v96, v97, v96
	v_fma_f16 v97, 0xbbdd, v84, v138
	v_add_f16_e64 v144, v145, v144
	v_fma_f16 v145, 0xbbb2, v70, v154
	v_mul_f16_e64 v159, 0x3b76, v175
	v_fma_f16 v143, 0x3a62, v86, v150
	v_add_f16_e32 v96, v97, v96
	v_fma_f16 v97, 0x2de8, v87, v142
	v_mul_f16_e64 v148, 0xb5c8, v189
	v_add_f16_e64 v144, v145, v144
	v_fma_f16 v145, 0xb5c8, v69, v159
	v_mul_f16_e64 v161, 0x3722, v136
	v_add_f16_e32 v96, v97, v96
	v_fma_f16 v97, 0x3b76, v88, v148
	v_add_f16_e64 v95, v143, v95
	v_add_f16_e64 v143, v145, v144
	v_fma_f16 v144, 0x3b29, v71, v161
	v_mul_f16_e64 v163, 0xbacd, v140
	v_mul_f16_e64 v194, 0xbbf7, v171
	v_add_f16_e32 v96, v97, v96
	v_mul_f16_e64 v179, 0xba62, v193
	v_add_f16_e64 v97, v144, v143
	v_fma_f16 v143, 0x3836, v72, v163
	v_mul_f16_e64 v181, 0xb8d2, v188
	v_fma_f16 v144, 0x2de8, v79, v194
	v_mul_f16_e64 v195, 0xb1e1, v172
	v_fma_f16 v145, 0xb8d2, v89, v179
	v_add_f16_e64 v97, v143, v97
	v_fma_f16 v143, 0xba62, v80, v181
	v_add_f16_e64 v144, v63, v144
	v_fma_f16 v146, 0xbbdd, v81, v195
	v_mul_f16_e64 v197, 0x3bb2, v183
	v_mul_f16_e64 v174, 0x3722, v182
	v_add_f16_e64 v96, v145, v96
	v_add_f16_e64 v97, v143, v97
	;; [unrolled: 1-line block ×3, first 2 shown]
	v_fma_f16 v145, 0xb461, v82, v197
	v_mul_f16_e64 v208, 0x35c8, v184
	v_fma_f16 v146, 0x3b29, v78, v174
	v_mul_f16_e64 v143, 0xb8d2, v180
	v_mul_f16_e64 v210, 0xbb29, v185
	v_add_f16_e64 v145, v145, v144
	v_fma_f16 v147, 0x3b76, v83, v208
	v_add_f16_e64 v146, v64, v146
	v_fma_f16 v153, 0x3a62, v77, v143
	v_mul_f16_e64 v144, 0xbbdd, v178
	v_fma_f16 v187, 0x3722, v84, v210
	v_add_f16_e64 v147, v147, v145
	v_mul_f16_e64 v217, 0xb836, v191
	v_add_f16_e64 v146, v153, v146
	v_fma_f16 v153, 0xb1e1, v70, v144
	v_mul_f16_e64 v145, 0xb461, v175
	v_mul_f16_e64 v192, 0x39e9, v190
	v_add_f16_e64 v147, v187, v147
	v_fma_f16 v187, 0xbacd, v87, v217
	v_mul_f16_e64 v218, 0x3a62, v189
	v_add_f16_e64 v153, v153, v146
	v_fma_f16 v196, 0xbbb2, v69, v145
	v_mul_f16_e64 v146, 0x39e9, v136
	v_fma_f16 v198, 0xb964, v86, v192
	v_add_f16_e64 v187, v187, v147
	v_fma_f16 v199, 0xb8d2, v88, v218
	v_add_f16_e64 v153, v196, v153
	v_fma_f16 v196, 0xb964, v71, v146
	v_mul_f16_e64 v147, 0x3b76, v140
	v_mul_f16_e64 v200, 0xbb29, v171
	v_add_f16_e64 v97, v198, v97
	v_add_f16_e64 v198, v199, v187
	;; [unrolled: 1-line block ×3, first 2 shown]
	v_fma_f16 v196, 0x35c8, v72, v147
	v_mul_f16_e64 v153, 0x2de8, v188
	v_fma_f16 v199, 0x3722, v79, v200
	v_mul_f16_e64 v201, 0xba62, v172
	v_mul_f16_e64 v211, 0x39e9, v182
	v_add_f16_e64 v187, v196, v187
	v_fma_f16 v202, 0x3bf7, v80, v153
	v_add_f16_e64 v199, v63, v199
	v_fma_f16 v203, 0xb8d2, v81, v201
	v_mul_f16_e64 v196, 0x31e1, v183
	v_fma_f16 v204, 0x3964, v78, v211
	v_add_f16_e64 v219, v202, v187
	v_mul_f16_e64 v202, 0x3bb2, v184
	v_add_f16_e64 v199, v203, v199
	v_fma_f16 v203, 0xbbdd, v82, v196
	v_mul_f16_e64 v212, 0x2de8, v180
	v_add_f16_e64 v206, v64, v204
	v_fma_f16 v205, 0xb461, v83, v202
	v_mul_f16_e64 v213, 0xb8d2, v178
	v_add_f16_e64 v199, v203, v199
	v_mul_f16_e64 v203, 0x3964, v185
	v_fma_f16 v214, 0x3bf7, v77, v212
	v_mul_f16_e64 v204, 0xb5c8, v191
	v_fma_f16 v215, 0x3a62, v70, v213
	v_add_f16_e64 v199, v205, v199
	v_fma_f16 v205, 0x39e9, v84, v203
	v_add_f16_e64 v206, v214, v206
	v_mul_f16_e64 v214, 0xbbdd, v175
	v_fma_f16 v216, 0x3b76, v87, v204
	v_mul_f16_e64 v187, 0xbacd, v190
	v_add_f16_e64 v199, v205, v199
	v_mul_f16_e64 v205, 0xbbf7, v189
	v_add_f16_e64 v220, v215, v206
	v_fma_f16 v221, 0x31e1, v69, v214
	v_mul_f16_e64 v215, 0xbacd, v136
	v_add_f16_e64 v199, v216, v199
	v_fma_f16 v222, 0x2de8, v88, v205
	v_mul_f16_e64 v209, 0x3964, v193
	v_mul_f16_e64 v206, 0xb836, v193
	v_add_f16_e64 v220, v221, v220
	v_fma_f16 v221, 0xb836, v71, v215
	v_mul_f16_e64 v216, 0xb461, v140
	v_fma_f16 v223, 0x3836, v86, v187
	v_add_f16_e64 v224, v222, v199
	v_mul_f16_e64 v222, 0xb964, v171
	v_fma_f16 v207, 0x39e9, v89, v209
	v_fma_f16 v225, 0xbacd, v89, v206
	v_add_f16_e64 v226, v221, v220
	v_fma_f16 v227, 0xbbb2, v72, v216
	v_add_f16_e64 v199, v223, v219
	v_fma_f16 v219, 0x39e9, v79, v222
	v_mul_f16_e64 v221, 0xbbf7, v172
	v_mul_f16_e64 v220, 0x3722, v188
	v_add_f16_e64 v198, v207, v198
	v_add_f16_e64 v207, v225, v224
	;; [unrolled: 1-line block ×5, first 2 shown]
	v_fma_f16 v226, 0x2de8, v81, v221
	v_mul_f16_e64 v219, 0xba62, v183
	v_fma_f16 v227, 0xbb29, v80, v220
	v_add_f16_e64 v224, v30, v224
	v_mul_f16_e64 v30, 0xb1e1, v184
	v_add_f16_e64 v225, v226, v225
	v_fma_f16 v226, 0xb8d2, v82, v219
	v_mul_f16_e64 v29, 0x3b76, v190
	v_add_f16_e64 v227, v227, v223
	v_add_f16_e64 v224, v23, v224
	v_mul_f16_e64 v223, 0x3b76, v182
	v_add_f16_e64 v225, v226, v225
	v_fma_f16 v226, 0xbbdd, v83, v30
	v_fma_f16 v228, 0xb5c8, v86, v29
	v_add_f16_e64 v182, v24, v224
	v_mul_f16_e64 v24, 0x3836, v185
	v_mul_f16_e64 v180, 0x39e9, v180
	v_add_f16_e64 v224, v226, v225
	v_fma_f16 v225, 0x35c8, v78, v223
	v_add_f16_e64 v23, v228, v227
	v_add_f16_e64 v226, v27, v182
	v_fma_f16 v227, 0xbacd, v84, v24
	v_mul_f16_e64 v27, 0x3bb2, v191
	v_add_f16_e64 v225, v64, v225
	v_fma_f16 v228, 0x3964, v77, v180
	v_mul_f16_e64 v182, 0x3722, v178
	v_add_f16_e64 v224, v227, v224
	v_fma_f16 v227, 0xb461, v87, v27
	v_mul_f16_e64 v175, 0x2de8, v175
	v_add_f16_e64 v225, v228, v225
	v_fma_f16 v228, 0x3b29, v70, v182
	v_add_f16_e64 v226, v28, v226
	v_add_f16_e64 v28, v227, v224
	v_fma_f16 v227, 0x3bf7, v69, v175
	v_mul_f16_e64 v171, 0xb5c8, v171
	v_add_f16_e64 v225, v228, v225
	v_add_f16_e64 v228, v75, v64
	v_mul_f16_e64 v75, 0xb461, v136
	v_mul_f16_e64 v178, 0x3b29, v189
	;; [unrolled: 1-line block ×3, first 2 shown]
	v_add_f16_e64 v136, v227, v225
	v_add_f16_e64 v225, v74, v228
	v_fma_f16 v227, 0x3bb2, v71, v75
	v_mul_f16_e64 v74, 0xb8d2, v140
	v_fma_f16 v224, 0x3722, v88, v178
	v_mul_f16_e64 v184, 0xbbf7, v184
	v_add_f16_e64 v65, v65, v225
	v_add_f16_e64 v225, v227, v136
	v_fma_f16 v227, 0x3a62, v72, v74
	v_mul_f16_e64 v136, 0xbacd, v188
	v_fma_f16 v188, 0x3b76, v79, v171
	v_add_f16_e32 v65, v73, v65
	v_mul_f16_e64 v73, 0xb964, v172
	v_add_f16_e64 v172, v227, v225
	v_add_f16_e64 v224, v224, v28
	;; [unrolled: 1-line block ×3, first 2 shown]
	v_add_f16_e32 v76, v76, v65
	v_fma_f16 v227, 0x39e9, v81, v73
	v_mul_f16_e64 v28, 0x35c8, v193
	v_fma_f16 v225, 0x3836, v80, v136
	v_fmac_f16_e32 v102, 0xb1e1, v78
	v_add_f16_e32 v67, v67, v76
	v_add_f16_e64 v76, v227, v188
	v_add_f16_e64 v188, v25, v226
	v_fma_f16 v140, 0x3b76, v89, v28
	v_fmac_f16_e32 v103, 0x35c8, v77
	v_add_f16_e32 v67, v68, v67
	v_fmac_f16_e32 v104, 0xb836, v70
	v_add_f16_e64 v26, v26, v188
	v_add_f16_e64 v65, v140, v224
	;; [unrolled: 1-line block ×3, first 2 shown]
	v_fma_f16 v172, 0x3722, v82, v183
	v_add_f16_e32 v66, v66, v67
	v_add_f16_e32 v15, v15, v26
	v_fmac_f16_e32 v105, 0x3964, v69
	v_fmac_f16_e64 v129, 0xb836, v78
	v_add_f16_e64 v68, v172, v76
	v_fma_f16 v76, 0x2de8, v83, v184
	v_add_f16_e32 v15, v16, v15
	v_mul_f16_e64 v172, 0xbbb2, v185
	v_add_f16_e32 v26, v44, v66
	v_mul_f16_e64 v66, 0xba62, v191
	v_add_f16_e32 v68, v76, v68
	v_add_f16_e32 v13, v13, v15
	v_fma_f16 v44, 0xb461, v84, v172
	v_add_f16_e32 v16, v43, v26
	v_add_f16_e32 v26, v64, v102
	v_fmac_f16_e32 v117, 0x3b29, v77
	v_add_f16_e32 v13, v14, v13
	v_add_f16_e32 v43, v44, v68
	v_fmamk_f16 v44, v87, 0xb8d2, v66
	v_add_f16_e32 v15, v41, v16
	v_add_f16_e32 v16, v103, v26
	;; [unrolled: 1-line block ×3, first 2 shown]
	v_mul_f16_e64 v41, 0xb836, v189
	v_add_f16_e32 v26, v44, v43
	v_add_f16_e32 v14, v40, v15
	;; [unrolled: 1-line block ×4, first 2 shown]
	v_fmamk_f16 v16, v88, 0xbacd, v41
	v_mul_f16_e64 v40, 0xb1e1, v193
	v_add_f16_e32 v13, v39, v14
	v_add_f16_e32 v14, v105, v15
	;; [unrolled: 1-line block ×4, first 2 shown]
	v_fmamk_f16 v16, v89, 0xbbdd, v40
	v_add_f16_e32 v12, v37, v13
	v_fma_f16 v26, v79, 0xbacd, -v131
	v_add_f16_e32 v9, v10, v9
	v_fma_f16 v10, v79, 0xbbdd, -v107
	;; [unrolled: 2-line block ×3, first 2 shown]
	v_add_f16_e64 v16, v64, v129
	v_fmac_f16_e32 v119, 0xbbf7, v70
	v_add_f16_e32 v10, v63, v10
	v_add_f16_e32 v12, v36, v12
	;; [unrolled: 1-line block ×4, first 2 shown]
	v_fma_f16 v36, v81, 0x3722, -v132
	v_add_f16_e32 v10, v15, v10
	v_fma_f16 v15, v82, 0xbacd, -v98
	v_fmac_f16_e32 v121, 0x3a62, v69
	v_add_f16_e32 v16, v119, v16
	v_add_f16_e32 v26, v36, v26
	v_fma_f16 v36, v82, 0x2de8, -v133
	v_add_f16_e32 v10, v15, v10
	v_fma_f16 v15, v83, 0x39e9, -v99
	v_add_f16_e32 v16, v121, v16
	v_fmac_f16_e32 v122, 0xb5c8, v71
	v_add_f16_e32 v26, v36, v26
	v_fma_f16 v36, v83, 0xb8d2, -v160
	v_add_f16_e32 v10, v15, v10
	v_fma_f16 v15, v84, 0xb8d2, -v100
	v_add_f16_e32 v16, v122, v16
	v_fmac_f16_e32 v123, 0xb1e1, v72
	;; [unrolled: 6-line block ×4, first 2 shown]
	v_add_f16_e32 v26, v36, v26
	v_fma_f16 v36, v88, 0x39e9, -v173
	v_add_f16_e32 v10, v15, v10
	v_fma_f16 v15, v89, 0x2de8, -v118
	v_fmac_f16_e32 v124, 0xba62, v78
	v_add_f16_e32 v12, v38, v12
	v_add_f16_e32 v26, v36, v26
	v_fma_f16 v36, v89, 0xb461, -v135
	v_add_f16_e32 v10, v15, v10
	v_add_f16_e32 v15, v127, v16
	v_fma_f16 v16, v79, 0xb8d2, -v149
	v_add_f16_e32 v37, v64, v124
	v_fmac_f16_e32 v112, 0x3bb2, v77
	v_fma_f16 v38, v81, 0xb461, -v151
	v_fmac_f16_e64 v165, 0xbbb2, v78
	v_add_f16_e32 v16, v63, v16
	v_add_f16_e32 v26, v36, v26
	;; [unrolled: 1-line block ×3, first 2 shown]
	v_fma_f16 v37, v82, 0x3b76, -v134
	v_fmac_f16_e64 v166, 0x3836, v77
	v_add_f16_e32 v16, v38, v16
	v_add_f16_e64 v38, v64, v165
	v_fmac_f16_e64 v167, 0x3964, v70
	v_fmac_f16_e64 v168, 0xbb29, v69
	;; [unrolled: 1-line block ×3, first 2 shown]
	v_add_f16_e32 v16, v37, v16
	v_fma_f16 v37, v83, 0xbacd, -v155
	v_add_f16_e64 v38, v166, v38
	v_fmac_f16_e64 v170, 0x3bf7, v72
	v_fmac_f16_e64 v139, 0xb5c8, v80
	v_fma_f16 v39, v79, 0xb461, -v177
	v_add_f16_e32 v16, v37, v16
	v_fma_f16 v37, v84, 0x2de8, -v156
	v_add_f16_e64 v38, v167, v38
	v_fmac_f16_e64 v186, 0xbbf7, v78
	v_mul_f16_e64 v25, 0xbbdd, v190
	v_fmac_f16_e64 v152, 0xb1e1, v77
	v_add_f16_e32 v16, v37, v16
	v_fma_f16 v37, v87, 0x39e9, -v157
	v_add_f16_e64 v38, v168, v38
	v_add_f16_e64 v43, v64, v186
	v_fmamk_f16 v67, v86, 0x31e1, v25
	v_fmac_f16_e32 v110, 0xba62, v71
	v_add_f16_e32 v16, v37, v16
	v_fma_f16 v37, v88, 0xbbdd, -v158
	v_add_f16_e64 v38, v169, v38
	v_fma_f16 v44, v79, 0x2de8, -v194
	v_add_f16_e64 v43, v152, v43
	v_fmac_f16_e64 v154, 0x3bb2, v70
	v_add_f16_e32 v16, v37, v16
	v_fma_f16 v37, v89, 0x3722, -v176
	v_add_f16_e64 v38, v170, v38
	v_add_f16_e32 v13, v110, v14
	v_add_f16_e64 v14, v67, v140
	v_add_f16_e32 v44, v63, v44
	v_add_f16_e32 v16, v37, v16
	v_add_f16_e64 v37, v139, v38
	v_add_f16_e32 v38, v63, v39
	v_fma_f16 v39, v81, 0xbacd, -v141
	v_fma_f16 v67, v81, 0xbbdd, -v195
	v_add_f16_e64 v43, v154, v43
	v_fmac_f16_e64 v159, 0x35c8, v69
	v_fmac_f16_e64 v161, 0xbb29, v71
	v_add_f16_e32 v38, v39, v38
	v_fma_f16 v39, v82, 0x39e9, -v130
	v_add_f16_e32 v44, v67, v44
	v_fma_f16 v67, v82, 0xb461, -v197
	v_add_f16_e64 v43, v159, v43
	v_fmac_f16_e64 v163, 0xb836, v72
	v_add_f16_e32 v38, v39, v38
	v_fma_f16 v39, v83, 0x3722, -v137
	v_add_f16_e32 v44, v67, v44
	v_fma_f16 v67, v83, 0x3b76, -v208
	v_add_f16_e64 v43, v161, v43
	;; [unrolled: 6-line block ×5, first 2 shown]
	v_fmac_f16_e64 v143, 0xba62, v77
	v_add_f16_e32 v38, v39, v38
	v_fma_f16 v39, v89, 0xb8d2, -v179
	v_add_f16_e32 v44, v67, v44
	v_fma_f16 v67, v89, 0x39e9, -v209
	v_fma_f16 v76, v81, 0xb8d2, -v201
	v_fmac_f16_e64 v211, 0xb964, v78
	v_add_f16_e32 v38, v39, v38
	v_add_f16_e64 v39, v192, v43
	v_fma_f16 v43, v79, 0x3722, -v200
	v_add_f16_e32 v44, v67, v44
	v_add_f16_e64 v67, v143, v68
	v_fma_f16 v68, v82, 0xbbdd, -v196
	v_fmac_f16_e64 v212, 0xbbf7, v77
	v_add_f16_e32 v43, v63, v43
	v_fmac_f16_e64 v213, 0xba62, v70
	v_fmac_f16_e64 v214, 0xb1e1, v69
	;; [unrolled: 1-line block ×4, first 2 shown]
	v_add_f16_e32 v43, v76, v43
	v_add_f16_e64 v76, v64, v211
	v_fmac_f16_e64 v220, 0x3b29, v80
	v_fma_f16 v98, v79, 0x39e9, -v222
	v_fmac_f16_e64 v223, 0xb5c8, v78
	v_add_f16_e32 v43, v68, v43
	v_fma_f16 v68, v83, 0xb461, -v202
	v_add_f16_e64 v76, v212, v76
	v_fma_f16 v78, v81, 0x2de8, -v221
	v_add_f16_e64 v64, v64, v223
	v_fmac_f16_e64 v180, 0xb964, v77
	v_add_f16_e32 v43, v68, v43
	v_fma_f16 v68, v84, 0x39e9, -v203
	v_add_f16_e64 v76, v213, v76
	v_fma_f16 v77, v79, 0x3b76, -v171
	v_fmac_f16_e32 v113, 0xb5c8, v70
	v_fmac_f16_e64 v144, 0x31e1, v70
	v_add_f16_e32 v43, v68, v43
	v_fma_f16 v68, v87, 0x3b76, -v204
	v_add_f16_e64 v76, v214, v76
	v_add_f16_e64 v64, v180, v64
	v_fmac_f16_e64 v182, 0xbb29, v70
	v_fma_f16 v70, v81, 0x39e9, -v73
	v_add_f16_e32 v43, v68, v43
	v_fma_f16 v68, v88, 0x2de8, -v205
	v_add_f16_e64 v76, v215, v76
	v_fmac_f16_e32 v114, 0xb836, v69
	v_fmac_f16_e64 v145, 0x3bb2, v69
	v_fma_f16 v30, v83, 0xbbdd, -v30
	v_add_f16_e32 v43, v68, v43
	v_fma_f16 v68, v89, 0xbacd, -v206
	v_add_f16_e64 v76, v216, v76
	v_add_f16_e64 v64, v182, v64
	v_fmac_f16_e64 v175, 0xbbf7, v69
	v_fma_f16 v69, v82, 0x3722, -v183
	v_add_f16_e32 v43, v68, v43
	v_add_f16_e64 v68, v220, v76
	v_add_f16_e32 v76, v63, v98
	v_add_f16_e32 v63, v63, v77
	;; [unrolled: 1-line block ×3, first 2 shown]
	v_add_f16_e64 v67, v144, v67
	v_fma_f16 v24, v84, 0xbacd, -v24
	v_add_f16_e32 v76, v78, v76
	v_fma_f16 v78, v82, 0xb8d2, -v219
	v_add_f16_e32 v63, v70, v63
	v_add_f16_e64 v64, v175, v64
	v_fmac_f16_e32 v75, 0xbbb2, v71
	v_add_f16_e32 v36, v114, v36
	v_add_f16_e32 v73, v78, v76
	;; [unrolled: 1-line block ×3, first 2 shown]
	v_fma_f16 v69, v83, 0x2de8, -v184
	v_fmac_f16_e32 v115, 0x3bf7, v71
	v_add_f16_e64 v67, v145, v67
	v_add_f16_e32 v30, v30, v73
	v_fmac_f16_e64 v146, 0x3964, v71
	v_fma_f16 v27, v87, 0xb461, -v27
	v_fmac_f16_e32 v74, 0xba62, v72
	v_add_f16_e32 v63, v69, v63
	v_add_f16_e32 v24, v24, v30
	;; [unrolled: 1-line block ×3, first 2 shown]
	v_fma_f16 v64, v84, 0xb461, -v172
	v_fmac_f16_e32 v111, 0x3b29, v72
	v_add_f16_e32 v36, v115, v36
	v_fmac_f16_e32 v116, 0xb964, v72
	v_add_f16_e64 v67, v146, v67
	v_fmac_f16_e64 v147, 0xb5c8, v72
	v_add_f16_e32 v24, v27, v24
	v_fma_f16 v27, v88, 0x3722, -v178
	v_add_f16_e32 v30, v74, v30
	v_fmac_f16_e64 v136, 0xb836, v80
	v_add_f16_e32 v63, v64, v63
	v_fma_f16 v64, v87, 0xb8d2, -v66
	v_add_f16_e32 v13, v111, v13
	v_fmac_f16_e32 v106, 0xbbb2, v80
	v_add_f16_e32 v36, v116, v36
	v_fmac_f16_e32 v120, 0xb1e1, v80
	v_add_f16_e64 v67, v147, v67
	v_fmac_f16_e64 v153, 0xbbf7, v80
	v_add_f16_e32 v24, v27, v24
	v_fma_f16 v27, v89, 0x3b76, -v28
	v_add_f16_e64 v28, v136, v30
	v_fmac_f16_e32 v25, 0xb1e1, v86
	v_add_f16_e32 v30, v64, v63
	v_fma_f16 v41, v88, 0xbacd, -v41
	v_add_f16_e32 v13, v106, v13
	v_fmac_f16_e64 v128, 0x3bf7, v86
	v_and_b32_e32 v35, 0xffff, v35
	v_add_f16_e32 v36, v120, v36
	v_fmac_f16_e32 v125, 0x3b29, v86
	v_fmac_f16_e64 v150, 0xba62, v86
	v_add_f16_e64 v67, v153, v67
	v_fmac_f16_e64 v187, 0xb836, v86
	v_fmac_f16_e32 v29, 0x35c8, v86
	v_add_f16_e32 v24, v27, v24
	v_add_f16_e32 v25, v25, v28
	v_add_f16_e32 v27, v41, v30
	v_fma_f16 v28, v89, 0xbbdd, -v40
	v_add_f16_e64 v13, v128, v13
	v_lshl_add_u32 v30, v35, 2, v33
	v_pack_b32_f16 v11, v11, v14
	v_pack_b32_f16 v9, v9, v12
	v_add_f16_e32 v36, v125, v36
	v_pack_b32_f16 v12, v207, v199
	v_pack_b32_f16 v14, v65, v23
	v_add_f16_e64 v37, v150, v37
	v_pack_b32_f16 v23, v96, v95
	v_pack_b32_f16 v33, v198, v97
	v_add_f16_e64 v67, v187, v67
	v_add_f16_e32 v29, v29, v68
	v_pack_b32_f16 v35, v92, v91
	v_pack_b32_f16 v40, v94, v93
	v_add_f16_e32 v27, v28, v27
	ds_store_2addr_b32 v30, v9, v11 offset1:1
	ds_store_2addr_b32 v30, v14, v12 offset0:2 offset1:3
	ds_store_2addr_b32 v30, v33, v23 offset0:4 offset1:5
	;; [unrolled: 1-line block ×3, first 2 shown]
	v_pack_b32_f16 v9, v10, v13
	v_pack_b32_f16 v10, v90, v85
	;; [unrolled: 1-line block ×9, first 2 shown]
	ds_store_2addr_b32 v30, v10, v9 offset0:8 offset1:9
	ds_store_2addr_b32 v30, v12, v11 offset0:10 offset1:11
	;; [unrolled: 1-line block ×4, first 2 shown]
	ds_store_b32 v30, v23 offset:64
.LBB0_13:
	s_wait_alu 0xfffe
	s_or_b32 exec_lo, exec_lo, s0
	v_add_nc_u32_e32 v23, 0x400, v42
	global_wb scope:SCOPE_SE
	s_wait_dscnt 0x0
	s_barrier_signal -1
	s_barrier_wait -1
	global_inv scope:SCOPE_SE
	ds_load_2addr_b32 v[9:10], v42 offset1:51
	ds_load_2addr_b32 v[11:12], v42 offset0:102 offset1:153
	ds_load_2addr_b32 v[13:14], v42 offset0:204 offset1:255
	ds_load_b32 v24, v42 offset:1632
	ds_load_2addr_b32 v[15:16], v23 offset0:50 offset1:101
	global_wb scope:SCOPE_SE
	s_wait_dscnt 0x0
	s_barrier_signal -1
	s_barrier_wait -1
	global_inv scope:SCOPE_SE
	v_lshrrev_b32_e32 v25, 16, v9
	v_lshrrev_b32_e32 v26, 16, v12
	;; [unrolled: 1-line block ×4, first 2 shown]
	v_mul_f16_e32 v35, v54, v12
	v_lshrrev_b32_e32 v39, 16, v16
	v_mul_f16_e32 v40, v54, v26
	v_lshrrev_b32_e32 v33, 16, v24
	v_mul_f16_e32 v44, v50, v38
	v_fma_f16 v26, v21, v26, -v35
	v_mul_f16_e32 v35, v50, v15
	v_mul_f16_e32 v43, v52, v30
	v_lshrrev_b32_e32 v28, 16, v13
	v_mul_f16_e32 v36, v53, v13
	v_mul_f16_e32 v37, v52, v14
	;; [unrolled: 1-line block ×3, first 2 shown]
	v_fmac_f16_e32 v40, v21, v12
	v_fmac_f16_e32 v44, v22, v15
	v_fma_f16 v12, v22, v38, -v35
	v_mul_f16_e32 v15, v49, v33
	v_fmac_f16_e32 v43, v17, v14
	v_mul_f16_e32 v14, v49, v24
	v_mul_f16_e32 v41, v53, v28
	v_fma_f16 v28, v19, v28, -v36
	v_mul_f16_e32 v36, v51, v16
	v_fmac_f16_e32 v50, v20, v16
	v_fma_f16 v16, v17, v30, -v37
	v_add_f16_e32 v17, v40, v44
	v_fmac_f16_e32 v15, v18, v24
	v_fma_f16 v14, v18, v33, -v14
	v_add_f16_e32 v18, v26, v12
	v_fmac_f16_e32 v41, v19, v13
	v_add_f16_e32 v19, v9, v40
	v_fma_f16 v9, -0.5, v17, v9
	v_sub_f16_e32 v17, v26, v12
	v_fma_f16 v13, v20, v39, -v36
	v_add_f16_e32 v20, v25, v26
	v_fmac_f16_e32 v25, -0.5, v18
	v_sub_f16_e32 v18, v40, v44
	v_fmamk_f16 v21, v17, 0xbaee, v9
	v_fmac_f16_e32 v9, 0x3aee, v17
	v_add_f16_e32 v17, v41, v50
	v_lshrrev_b32_e32 v27, 16, v10
	v_add_f16_e32 v12, v20, v12
	v_fmamk_f16 v20, v18, 0x3aee, v25
	v_fmac_f16_e32 v25, 0xbaee, v18
	v_add_f16_e32 v18, v28, v13
	v_add_f16_e32 v22, v10, v41
	v_fmac_f16_e32 v10, -0.5, v17
	v_sub_f16_e32 v17, v28, v13
	v_add_f16_e32 v24, v27, v28
	v_fmac_f16_e32 v27, -0.5, v18
	v_sub_f16_e32 v18, v41, v50
	v_lshrrev_b32_e32 v29, 16, v11
	v_fmamk_f16 v26, v17, 0xbaee, v10
	v_fmac_f16_e32 v10, 0x3aee, v17
	v_add_f16_e32 v17, v43, v15
	v_add_f16_e32 v13, v24, v13
	v_fmamk_f16 v24, v18, 0x3aee, v27
	v_fmac_f16_e32 v27, 0xbaee, v18
	v_add_f16_e32 v18, v16, v14
	v_add_f16_e32 v19, v19, v44
	;; [unrolled: 1-line block ×3, first 2 shown]
	v_fmac_f16_e32 v11, -0.5, v17
	v_sub_f16_e32 v17, v16, v14
	v_add_f16_e32 v16, v29, v16
	v_fmac_f16_e32 v29, -0.5, v18
	v_sub_f16_e32 v18, v43, v15
	v_add_f16_e32 v22, v22, v50
	v_add_f16_e32 v15, v28, v15
	v_fmamk_f16 v28, v17, 0xbaee, v11
	v_fmac_f16_e32 v11, 0x3aee, v17
	v_pack_b32_f16 v12, v19, v12
	v_pack_b32_f16 v17, v21, v20
	v_add_f16_e32 v14, v16, v14
	v_fmamk_f16 v16, v18, 0x3aee, v29
	v_fmac_f16_e32 v29, 0xbaee, v18
	v_pack_b32_f16 v9, v9, v25
	ds_store_2addr_b32 v46, v12, v17 offset1:17
	v_pack_b32_f16 v12, v22, v13
	v_pack_b32_f16 v13, v26, v24
	;; [unrolled: 1-line block ×6, first 2 shown]
	ds_store_b32 v46, v9 offset:136
	ds_store_2addr_b32 v48, v12, v13 offset1:17
	ds_store_b32 v48, v10 offset:136
	ds_store_2addr_b32 v47, v14, v15 offset1:17
	ds_store_b32 v47, v11 offset:136
	global_wb scope:SCOPE_SE
	s_wait_dscnt 0x0
	s_barrier_signal -1
	s_barrier_wait -1
	global_inv scope:SCOPE_SE
	ds_load_2addr_b32 v[9:10], v42 offset1:51
	ds_load_2addr_b32 v[11:12], v42 offset0:102 offset1:153
	ds_load_2addr_b32 v[13:14], v42 offset0:204 offset1:255
	;; [unrolled: 1-line block ×3, first 2 shown]
	ds_load_b32 v17, v42 offset:1632
	s_wait_dscnt 0x4
	v_lshrrev_b32_e32 v18, 16, v10
	s_wait_dscnt 0x3
	v_lshrrev_b32_e32 v20, 16, v11
	v_lshrrev_b32_e32 v21, 16, v12
	s_wait_dscnt 0x2
	v_lshrrev_b32_e32 v22, 16, v13
	v_lshrrev_b32_e32 v24, 16, v14
	v_mul_f16_e32 v23, v62, v18
	v_mul_f16_e32 v28, v61, v20
	;; [unrolled: 1-line block ×3, first 2 shown]
	s_wait_dscnt 0x1
	v_lshrrev_b32_e32 v25, 16, v15
	v_lshrrev_b32_e32 v26, 16, v16
	v_fmac_f16_e32 v23, v0, v10
	v_mul_f16_e32 v10, v62, v10
	s_wait_dscnt 0x0
	v_lshrrev_b32_e32 v27, 16, v17
	v_mul_f16_e32 v29, v61, v11
	v_mul_f16_e32 v33, v60, v12
	v_fmac_f16_e32 v28, v1, v11
	v_fma_f16 v0, v0, v18, -v10
	v_fmac_f16_e32 v30, v2, v12
	v_mul_f16_e32 v10, v59, v22
	v_mul_f16_e32 v11, v59, v13
	;; [unrolled: 1-line block ×4, first 2 shown]
	v_fma_f16 v1, v1, v20, -v29
	v_mul_f16_e32 v20, v55, v25
	v_fmac_f16_e32 v10, v3, v13
	v_fma_f16 v3, v3, v22, -v11
	v_fmac_f16_e32 v12, v4, v14
	v_fma_f16 v4, v4, v24, -v18
	v_mul_f16_e32 v11, v57, v27
	v_mul_f16_e32 v13, v57, v17
	;; [unrolled: 1-line block ×4, first 2 shown]
	v_fmac_f16_e32 v20, v5, v15
	v_mul_f16_e32 v15, v55, v15
	v_fmac_f16_e32 v11, v7, v17
	v_fma_f16 v7, v7, v27, -v13
	v_fmac_f16_e32 v14, v6, v16
	v_fma_f16 v6, v6, v26, -v18
	v_fma_f16 v2, v2, v21, -v33
	;; [unrolled: 1-line block ×3, first 2 shown]
	v_add_f16_e32 v13, v23, v11
	v_add_f16_e32 v15, v0, v7
	;; [unrolled: 1-line block ×4, first 2 shown]
	v_sub_f16_e32 v11, v23, v11
	v_add_f16_e32 v18, v30, v20
	v_add_f16_e32 v21, v2, v5
	;; [unrolled: 1-line block ×4, first 2 shown]
	v_sub_f16_e32 v0, v0, v7
	v_sub_f16_e32 v7, v28, v14
	v_mul_f16_e32 v14, 0x3924, v11
	v_sub_f16_e32 v23, v10, v12
	v_sub_f16_e32 v24, v3, v4
	v_add_f16_e32 v38, v18, v33
	v_add_f16_e32 v39, v21, v35
	v_sub_f16_e32 v20, v30, v20
	v_fmac_f16_e32 v14, 0x3be1, v7
	v_add_f16_e32 v25, v10, v12
	v_add_f16_e32 v26, v3, v4
	v_mul_f16_e32 v27, 0xb924, v24
	v_mul_f16_e32 v29, 0xb924, v23
	v_add_f16_e32 v10, v10, v38
	v_add_f16_e32 v3, v3, v39
	v_lshrrev_b32_e32 v19, 16, v9
	v_sub_f16_e32 v2, v2, v5
	v_fmac_f16_e32 v14, 0x3aee, v20
	v_fmamk_f16 v28, v25, 0x3a21, v9
	v_fmac_f16_e32 v27, 0x3be1, v0
	v_fmac_f16_e32 v29, 0x3be1, v11
	v_add_f16_e32 v10, v12, v10
	v_add_f16_e32 v3, v4, v3
	v_sub_f16_e32 v1, v1, v6
	v_mul_f16_e32 v6, 0x3924, v0
	v_fmamk_f16 v5, v13, 0x3a21, v9
	v_fmamk_f16 v22, v15, 0x3a21, v19
	v_fmac_f16_e32 v14, 0x3579, v23
	v_fmamk_f16 v30, v26, 0x3a21, v19
	v_fmac_f16_e32 v28, 0x318f, v13
	v_fmac_f16_e32 v27, 0xbaee, v2
	;; [unrolled: 1-line block ×3, first 2 shown]
	v_add_f16_e32 v36, v23, v11
	v_add_f16_e32 v37, v24, v0
	;; [unrolled: 1-line block ×4, first 2 shown]
	v_mul_f16_e32 v12, 0x3be1, v23
	v_mul_f16_e32 v23, 0x3be1, v24
	v_add_f16_e32 v10, v10, v9
	v_add_f16_e32 v3, v3, v19
	v_fmac_f16_e32 v9, 0x3a21, v16
	v_fmac_f16_e32 v19, 0x3a21, v17
	;; [unrolled: 1-line block ×3, first 2 shown]
	v_fmac_f16_e32 v28, -0.5, v18
	v_fmac_f16_e32 v27, 0x3579, v1
	v_fmac_f16_e32 v29, 0x3579, v7
	v_sub_f16_e32 v36, v36, v7
	v_sub_f16_e32 v37, v37, v1
	v_fma_f16 v7, v7, 0xb924, -v12
	v_fma_f16 v1, v1, 0xb924, -v23
	v_fmac_f16_e32 v9, 0x318f, v25
	v_fmac_f16_e32 v19, 0x318f, v26
	;; [unrolled: 1-line block ×6, first 2 shown]
	v_add_f16_e32 v4, v25, v33
	v_add_f16_e32 v16, v26, v35
	v_fmac_f16_e32 v7, 0x3aee, v20
	v_fmac_f16_e32 v1, 0x3aee, v2
	v_fmac_f16_e32 v9, -0.5, v18
	v_fmac_f16_e32 v19, -0.5, v21
	v_fmac_f16_e32 v6, 0x3aee, v2
	v_fmac_f16_e32 v5, -0.5, v18
	v_fmac_f16_e32 v22, -0.5, v21
	;; [unrolled: 1-line block ×5, first 2 shown]
	v_fmac_f16_e32 v7, 0x3579, v11
	v_fmac_f16_e32 v1, 0x3579, v0
	;; [unrolled: 1-line block ×8, first 2 shown]
	v_mul_f16_e32 v38, 0x3aee, v36
	v_mul_f16_e32 v0, 0x3aee, v37
	v_fmac_f16_e32 v39, 0xbaee, v37
	v_fmac_f16_e32 v40, 0x3aee, v36
	v_sub_f16_e32 v2, v9, v1
	v_add_f16_e32 v4, v7, v19
	v_sub_f16_e32 v5, v5, v6
	v_add_f16_e32 v22, v14, v22
	;; [unrolled: 2-line block ×3, first 2 shown]
	v_fma_f16 v0, 2.0, v0, v39
	v_fma_f16 v11, -2.0, v38, v40
	v_fma_f16 v1, 2.0, v1, v2
	v_fma_f16 v7, -2.0, v7, v4
	;; [unrolled: 2-line block ×4, first 2 shown]
	v_pack_b32_f16 v3, v10, v3
	v_pack_b32_f16 v2, v2, v4
	;; [unrolled: 1-line block ×4, first 2 shown]
	v_add_nc_u32_e32 v1, 0x200, v34
	v_add_nc_u32_e32 v0, 0x400, v34
	v_pack_b32_f16 v5, v5, v22
	v_pack_b32_f16 v10, v28, v30
	;; [unrolled: 1-line block ×5, first 2 shown]
	ds_store_b32 v45, v3
	ds_store_2addr_b32 v34, v5, v10 offset0:51 offset1:102
	ds_store_2addr_b32 v34, v12, v2 offset0:153 offset1:204
	;; [unrolled: 1-line block ×4, first 2 shown]
	global_wb scope:SCOPE_SE
	s_wait_dscnt 0x0
	s_barrier_signal -1
	s_barrier_wait -1
	global_inv scope:SCOPE_SE
	s_and_b32 exec_lo, exec_lo, vcc_lo
	s_cbranch_execz .LBB0_15
; %bb.14:
	global_load_b32 v2, v31, s[8:9]
	ds_load_b32 v3, v45
	s_mov_b32 s10, 0x672e4abd
	s_mov_b32 s11, 0x3f61d8f5
	v_mad_co_u64_u32 v[9:10], null, s4, v32, 0
	s_wait_dscnt 0x0
	v_lshrrev_b32_e32 v4, 16, v3
	s_wait_loadcnt 0x0
	v_lshrrev_b32_e32 v5, 16, v2
	s_delay_alu instid0(VALU_DEP_1) | instskip(SKIP_1) | instid1(VALU_DEP_2)
	v_mul_f16_e32 v6, v4, v5
	v_mul_f16_e32 v5, v3, v5
	v_fmac_f16_e32 v6, v3, v2
	s_delay_alu instid0(VALU_DEP_2) | instskip(NEXT) | instid1(VALU_DEP_2)
	v_fma_f16 v2, v2, v4, -v5
	v_cvt_f32_f16_e32 v3, v6
	s_delay_alu instid0(VALU_DEP_2) | instskip(SKIP_1) | instid1(VALU_DEP_3)
	v_cvt_f32_f16_e32 v4, v2
	v_mad_co_u64_u32 v[6:7], null, s6, v8, 0
	v_cvt_f64_f32_e32 v[2:3], v3
	s_delay_alu instid0(VALU_DEP_3) | instskip(NEXT) | instid1(VALU_DEP_3)
	v_cvt_f64_f32_e32 v[4:5], v4
	v_mad_co_u64_u32 v[7:8], null, s7, v8, v[7:8]
	s_delay_alu instid0(VALU_DEP_1) | instskip(SKIP_1) | instid1(VALU_DEP_4)
	v_lshlrev_b64_e32 v[6:7], 2, v[6:7]
	s_wait_alu 0xfffe
	v_mul_f64_e32 v[2:3], s[10:11], v[2:3]
	s_delay_alu instid0(VALU_DEP_4) | instskip(NEXT) | instid1(VALU_DEP_2)
	v_mul_f64_e32 v[4:5], s[10:11], v[4:5]
	v_and_or_b32 v2, 0x1ff, v3, v2
	s_delay_alu instid0(VALU_DEP_2)
	v_and_or_b32 v4, 0x1ff, v5, v4
	v_bfe_u32 v14, v5, 20, 11
	v_lshrrev_b32_e32 v11, 8, v3
	v_bfe_u32 v12, v3, 20, 11
	v_cmp_ne_u32_e32 vcc_lo, 0, v2
	v_lshrrev_b32_e32 v13, 8, v5
	v_sub_nc_u32_e32 v16, 0x3f1, v14
	v_add_nc_u32_e32 v14, 0xfffffc10, v14
	v_lshrrev_b32_e32 v5, 16, v5
	v_cndmask_b32_e64 v15, 0, 1, vcc_lo
	v_cmp_ne_u32_e32 vcc_lo, 0, v4
	s_delay_alu instid0(VALU_DEP_2) | instskip(SKIP_2) | instid1(VALU_DEP_1)
	v_and_or_b32 v15, 0xffe, v11, v15
	s_wait_alu 0xfffd
	v_cndmask_b32_e64 v4, 0, 1, vcc_lo
	v_and_or_b32 v4, 0xffe, v13, v4
	v_med3_i32 v13, v16, 0, 13
	v_mov_b32_e32 v2, v10
	v_sub_nc_u32_e32 v10, 0x3f1, v12
	v_or_b32_e32 v16, 0x1000, v15
	v_or_b32_e32 v17, 0x1000, v4
	s_delay_alu instid0(VALU_DEP_3) | instskip(SKIP_1) | instid1(VALU_DEP_3)
	v_med3_i32 v8, v10, 0, 13
	v_mad_co_u64_u32 v[10:11], null, s5, v32, v[2:3]
	v_lshrrev_b32_e32 v11, v13, v17
	s_mul_u64 s[4:5], s[4:5], 0x6c
	s_delay_alu instid0(VALU_DEP_3) | instskip(NEXT) | instid1(VALU_DEP_2)
	v_lshrrev_b32_e32 v2, v8, v16
	v_lshlrev_b32_e32 v13, v13, v11
	s_delay_alu instid0(VALU_DEP_2) | instskip(NEXT) | instid1(VALU_DEP_1)
	v_lshlrev_b32_e32 v8, v8, v2
	v_cmp_ne_u32_e32 vcc_lo, v8, v16
	s_wait_alu 0xfffd
	v_cndmask_b32_e64 v8, 0, 1, vcc_lo
	v_cmp_ne_u32_e32 vcc_lo, v13, v17
	s_delay_alu instid0(VALU_DEP_2) | instskip(SKIP_3) | instid1(VALU_DEP_2)
	v_or_b32_e32 v2, v2, v8
	s_wait_alu 0xfffd
	v_cndmask_b32_e64 v13, 0, 1, vcc_lo
	v_lshl_or_b32 v8, v14, 12, v4
	v_or_b32_e32 v11, v11, v13
	v_add_nc_u32_e32 v12, 0xfffffc10, v12
	v_lshrrev_b32_e32 v13, 16, v3
	s_delay_alu instid0(VALU_DEP_2) | instskip(SKIP_2) | instid1(VALU_DEP_2)
	v_lshl_or_b32 v16, v12, 12, v15
	v_cmp_gt_i32_e32 vcc_lo, 1, v12
	s_wait_alu 0xfffd
	v_cndmask_b32_e32 v2, v16, v2, vcc_lo
	v_cmp_gt_i32_e32 vcc_lo, 1, v14
	s_wait_alu 0xfffd
	v_cndmask_b32_e32 v3, v8, v11, vcc_lo
	v_cmp_ne_u32_e32 vcc_lo, 0, v15
	s_delay_alu instid0(VALU_DEP_2)
	v_and_b32_e32 v15, 7, v3
	s_wait_alu 0xfffd
	v_cndmask_b32_e64 v8, 0, 1, vcc_lo
	v_cmp_ne_u32_e32 vcc_lo, 0, v4
	v_lshrrev_b32_e32 v3, 2, v3
	v_cmp_lt_i32_e64 s1, 5, v15
	s_delay_alu instid0(VALU_DEP_4)
	v_lshl_or_b32 v8, v8, 9, 0x7c00
	v_and_b32_e32 v11, 7, v2
	s_wait_alu 0xfffd
	v_cndmask_b32_e64 v4, 0, 1, vcc_lo
	v_lshrrev_b32_e32 v2, 2, v2
	v_cmp_eq_u32_e64 s2, 3, v15
	v_cmp_lt_i32_e32 vcc_lo, 5, v11
	v_cmp_eq_u32_e64 s0, 3, v11
	v_lshl_or_b32 v4, v4, 9, 0x7c00
	s_delay_alu instid0(VALU_DEP_2)
	s_or_b32 vcc_lo, s0, vcc_lo
	s_wait_alu 0xfffe
	v_add_co_ci_u32_e32 v2, vcc_lo, 0, v2, vcc_lo
	s_or_b32 vcc_lo, s2, s1
	s_wait_alu 0xfffe
	v_add_co_ci_u32_e32 v3, vcc_lo, 0, v3, vcc_lo
	v_cmp_gt_i32_e32 vcc_lo, 31, v12
	s_wait_alu 0xfffd
	v_cndmask_b32_e32 v2, 0x7c00, v2, vcc_lo
	v_cmp_gt_i32_e32 vcc_lo, 31, v14
	s_wait_alu 0xfffd
	v_cndmask_b32_e32 v11, 0x7c00, v3, vcc_lo
	v_cmp_eq_u32_e32 vcc_lo, 0x40f, v12
	s_wait_alu 0xfffd
	v_cndmask_b32_e32 v8, v2, v8, vcc_lo
	v_cmp_eq_u32_e32 vcc_lo, 0x40f, v14
	v_lshlrev_b64_e32 v[2:3], 2, v[9:10]
	s_delay_alu instid0(VALU_DEP_3)
	v_and_or_b32 v8, 0x8000, v13, v8
	s_wait_alu 0xfffd
	v_cndmask_b32_e32 v4, v11, v4, vcc_lo
	v_add_co_u32 v6, vcc_lo, s12, v6
	s_wait_alu 0xfffd
	v_add_co_ci_u32_e32 v7, vcc_lo, s13, v7, vcc_lo
	s_delay_alu instid0(VALU_DEP_3) | instskip(SKIP_4) | instid1(VALU_DEP_3)
	v_and_or_b32 v4, 0x8000, v5, v4
	v_and_b32_e32 v5, 0xffff, v8
	v_add_co_u32 v2, vcc_lo, v6, v2
	s_wait_alu 0xfffd
	v_add_co_ci_u32_e32 v3, vcc_lo, v7, v3, vcc_lo
	v_lshl_or_b32 v4, v4, 16, v5
	global_store_b32 v[2:3], v4, off
	global_load_b32 v6, v31, s[8:9] offset:108
	ds_load_2addr_b32 v[4:5], v34 offset0:27 offset1:54
	s_wait_dscnt 0x0
	v_lshrrev_b32_e32 v7, 16, v4
	s_wait_loadcnt 0x0
	v_lshrrev_b32_e32 v8, 16, v6
	s_delay_alu instid0(VALU_DEP_1) | instskip(SKIP_1) | instid1(VALU_DEP_2)
	v_mul_f16_e32 v9, v7, v8
	v_mul_f16_e32 v8, v4, v8
	v_fmac_f16_e32 v9, v4, v6
	s_delay_alu instid0(VALU_DEP_2) | instskip(NEXT) | instid1(VALU_DEP_2)
	v_fma_f16 v4, v6, v7, -v8
	v_cvt_f32_f16_e32 v6, v9
	s_delay_alu instid0(VALU_DEP_2) | instskip(NEXT) | instid1(VALU_DEP_2)
	v_cvt_f32_f16_e32 v4, v4
	v_cvt_f64_f32_e32 v[6:7], v6
	s_delay_alu instid0(VALU_DEP_2) | instskip(NEXT) | instid1(VALU_DEP_2)
	v_cvt_f64_f32_e32 v[8:9], v4
	v_mul_f64_e32 v[6:7], s[10:11], v[6:7]
	s_delay_alu instid0(VALU_DEP_2) | instskip(NEXT) | instid1(VALU_DEP_2)
	v_mul_f64_e32 v[8:9], s[10:11], v[8:9]
	v_and_or_b32 v4, 0x1ff, v7, v6
	s_delay_alu instid0(VALU_DEP_2)
	v_and_or_b32 v8, 0x1ff, v9, v8
	v_lshrrev_b32_e32 v6, 8, v7
	v_bfe_u32 v10, v7, 20, 11
	v_lshrrev_b32_e32 v11, 8, v9
	v_cmp_ne_u32_e32 vcc_lo, 0, v4
	v_bfe_u32 v12, v9, 20, 11
	v_lshrrev_b32_e32 v7, 16, v7
	v_sub_nc_u32_e32 v13, 0x3f1, v10
	v_add_nc_u32_e32 v10, 0xfffffc10, v10
	s_wait_alu 0xfffd
	v_cndmask_b32_e64 v4, 0, 1, vcc_lo
	v_cmp_ne_u32_e32 vcc_lo, 0, v8
	v_lshrrev_b32_e32 v9, 16, v9
	s_delay_alu instid0(VALU_DEP_3) | instskip(SKIP_4) | instid1(VALU_DEP_3)
	v_and_or_b32 v4, 0xffe, v6, v4
	s_wait_alu 0xfffd
	v_cndmask_b32_e64 v8, 0, 1, vcc_lo
	v_sub_nc_u32_e32 v6, 0x3f1, v12
	v_add_nc_u32_e32 v12, 0xfffffc10, v12
	v_and_or_b32 v8, 0xffe, v11, v8
	v_med3_i32 v11, v13, 0, 13
	v_or_b32_e32 v13, 0x1000, v4
	v_med3_i32 v6, v6, 0, 13
	s_delay_alu instid0(VALU_DEP_4) | instskip(NEXT) | instid1(VALU_DEP_3)
	v_or_b32_e32 v14, 0x1000, v8
	v_lshrrev_b32_e32 v15, v11, v13
	s_delay_alu instid0(VALU_DEP_2) | instskip(NEXT) | instid1(VALU_DEP_2)
	v_lshrrev_b32_e32 v16, v6, v14
	v_lshlrev_b32_e32 v11, v11, v15
	s_delay_alu instid0(VALU_DEP_2) | instskip(NEXT) | instid1(VALU_DEP_2)
	v_lshlrev_b32_e32 v6, v6, v16
	v_cmp_ne_u32_e32 vcc_lo, v11, v13
	v_lshl_or_b32 v13, v10, 12, v4
	s_wait_alu 0xfffd
	v_cndmask_b32_e64 v11, 0, 1, vcc_lo
	v_cmp_ne_u32_e32 vcc_lo, v6, v14
	v_lshl_or_b32 v14, v12, 12, v8
	s_delay_alu instid0(VALU_DEP_3) | instskip(SKIP_3) | instid1(VALU_DEP_2)
	v_or_b32_e32 v11, v15, v11
	s_wait_alu 0xfffd
	v_cndmask_b32_e64 v6, 0, 1, vcc_lo
	v_cmp_gt_i32_e32 vcc_lo, 1, v10
	v_or_b32_e32 v6, v16, v6
	s_wait_alu 0xfffd
	v_cndmask_b32_e32 v11, v13, v11, vcc_lo
	v_cmp_gt_i32_e32 vcc_lo, 1, v12
	s_wait_alu 0xfffd
	s_delay_alu instid0(VALU_DEP_2) | instskip(SKIP_2) | instid1(VALU_DEP_3)
	v_dual_cndmask_b32 v6, v14, v6 :: v_dual_and_b32 v13, 7, v11
	v_cmp_ne_u32_e32 vcc_lo, 0, v4
	v_lshrrev_b32_e32 v11, 2, v11
	v_cmp_eq_u32_e64 s0, 3, v13
	s_delay_alu instid0(VALU_DEP_4)
	v_and_b32_e32 v14, 7, v6
	s_wait_alu 0xfffd
	v_cndmask_b32_e64 v4, 0, 1, vcc_lo
	v_cmp_ne_u32_e32 vcc_lo, 0, v8
	v_lshrrev_b32_e32 v6, 2, v6
	v_cmp_lt_i32_e64 s1, 5, v14
	v_cmp_eq_u32_e64 s2, 3, v14
	s_wait_alu 0xfffd
	v_cndmask_b32_e64 v8, 0, 1, vcc_lo
	v_cmp_lt_i32_e32 vcc_lo, 5, v13
	v_lshl_or_b32 v4, v4, 9, 0x7c00
	s_delay_alu instid0(VALU_DEP_3)
	v_lshl_or_b32 v8, v8, 9, 0x7c00
	s_or_b32 vcc_lo, s0, vcc_lo
	s_wait_alu 0xfffe
	v_add_co_ci_u32_e32 v11, vcc_lo, 0, v11, vcc_lo
	s_or_b32 vcc_lo, s2, s1
	s_wait_alu 0xfffe
	v_add_co_ci_u32_e32 v6, vcc_lo, 0, v6, vcc_lo
	v_cmp_gt_i32_e32 vcc_lo, 31, v10
	s_wait_alu 0xfffd
	v_cndmask_b32_e32 v11, 0x7c00, v11, vcc_lo
	v_cmp_gt_i32_e32 vcc_lo, 31, v12
	s_wait_alu 0xfffd
	v_cndmask_b32_e32 v6, 0x7c00, v6, vcc_lo
	v_cmp_eq_u32_e32 vcc_lo, 0x40f, v10
	s_wait_alu 0xfffd
	v_cndmask_b32_e32 v4, v11, v4, vcc_lo
	v_cmp_eq_u32_e32 vcc_lo, 0x40f, v12
	s_delay_alu instid0(VALU_DEP_2)
	v_and_or_b32 v4, 0x8000, v7, v4
	s_wait_alu 0xfffd
	v_cndmask_b32_e32 v6, v6, v8, vcc_lo
	v_add_co_u32 v2, vcc_lo, v2, s4
	s_wait_alu 0xfffd
	v_add_co_ci_u32_e32 v3, vcc_lo, s5, v3, vcc_lo
	s_delay_alu instid0(VALU_DEP_3) | instskip(SKIP_1) | instid1(VALU_DEP_1)
	v_and_or_b32 v6, 0x8000, v9, v6
	v_and_b32_e32 v4, 0xffff, v4
	v_lshl_or_b32 v4, v6, 16, v4
	v_lshrrev_b32_e32 v6, 16, v5
	global_store_b32 v[2:3], v4, off
	global_load_b32 v4, v31, s[8:9] offset:216
	s_wait_loadcnt 0x0
	v_lshrrev_b32_e32 v7, 16, v4
	s_delay_alu instid0(VALU_DEP_1) | instskip(SKIP_1) | instid1(VALU_DEP_2)
	v_mul_f16_e32 v8, v6, v7
	v_mul_f16_e32 v7, v5, v7
	v_fmac_f16_e32 v8, v5, v4
	s_delay_alu instid0(VALU_DEP_2) | instskip(NEXT) | instid1(VALU_DEP_2)
	v_fma_f16 v4, v4, v6, -v7
	v_cvt_f32_f16_e32 v5, v8
	s_delay_alu instid0(VALU_DEP_2) | instskip(NEXT) | instid1(VALU_DEP_2)
	v_cvt_f32_f16_e32 v6, v4
	v_cvt_f64_f32_e32 v[4:5], v5
	s_delay_alu instid0(VALU_DEP_2) | instskip(NEXT) | instid1(VALU_DEP_2)
	v_cvt_f64_f32_e32 v[6:7], v6
	v_mul_f64_e32 v[4:5], s[10:11], v[4:5]
	s_delay_alu instid0(VALU_DEP_2) | instskip(NEXT) | instid1(VALU_DEP_2)
	v_mul_f64_e32 v[6:7], s[10:11], v[6:7]
	v_and_or_b32 v4, 0x1ff, v5, v4
	s_delay_alu instid0(VALU_DEP_2)
	v_and_or_b32 v6, 0x1ff, v7, v6
	v_lshrrev_b32_e32 v8, 8, v5
	v_bfe_u32 v9, v5, 20, 11
	v_lshrrev_b32_e32 v10, 8, v7
	v_cmp_ne_u32_e32 vcc_lo, 0, v4
	v_bfe_u32 v11, v7, 20, 11
	v_lshrrev_b32_e32 v5, 16, v5
	v_sub_nc_u32_e32 v12, 0x3f1, v9
	v_add_nc_u32_e32 v9, 0xfffffc10, v9
	s_wait_alu 0xfffd
	v_cndmask_b32_e64 v4, 0, 1, vcc_lo
	v_cmp_ne_u32_e32 vcc_lo, 0, v6
	v_lshrrev_b32_e32 v7, 16, v7
	s_delay_alu instid0(VALU_DEP_3) | instskip(SKIP_4) | instid1(VALU_DEP_3)
	v_and_or_b32 v4, 0xffe, v8, v4
	s_wait_alu 0xfffd
	v_cndmask_b32_e64 v6, 0, 1, vcc_lo
	v_sub_nc_u32_e32 v8, 0x3f1, v11
	v_add_nc_u32_e32 v11, 0xfffffc10, v11
	v_and_or_b32 v6, 0xffe, v10, v6
	v_med3_i32 v10, v12, 0, 13
	v_or_b32_e32 v12, 0x1000, v4
	v_med3_i32 v8, v8, 0, 13
	s_delay_alu instid0(VALU_DEP_4) | instskip(NEXT) | instid1(VALU_DEP_3)
	v_or_b32_e32 v13, 0x1000, v6
	v_lshrrev_b32_e32 v14, v10, v12
	s_delay_alu instid0(VALU_DEP_2) | instskip(NEXT) | instid1(VALU_DEP_2)
	v_lshrrev_b32_e32 v15, v8, v13
	v_lshlrev_b32_e32 v10, v10, v14
	s_delay_alu instid0(VALU_DEP_2) | instskip(NEXT) | instid1(VALU_DEP_2)
	v_lshlrev_b32_e32 v8, v8, v15
	v_cmp_ne_u32_e32 vcc_lo, v10, v12
	v_lshl_or_b32 v12, v9, 12, v4
	s_wait_alu 0xfffd
	v_cndmask_b32_e64 v10, 0, 1, vcc_lo
	v_cmp_ne_u32_e32 vcc_lo, v8, v13
	v_lshl_or_b32 v13, v11, 12, v6
	s_delay_alu instid0(VALU_DEP_3) | instskip(SKIP_3) | instid1(VALU_DEP_2)
	v_or_b32_e32 v10, v14, v10
	s_wait_alu 0xfffd
	v_cndmask_b32_e64 v8, 0, 1, vcc_lo
	v_cmp_gt_i32_e32 vcc_lo, 1, v9
	v_or_b32_e32 v8, v15, v8
	s_wait_alu 0xfffd
	v_cndmask_b32_e32 v10, v12, v10, vcc_lo
	v_cmp_gt_i32_e32 vcc_lo, 1, v11
	s_delay_alu instid0(VALU_DEP_2)
	v_and_b32_e32 v12, 7, v10
	s_wait_alu 0xfffd
	v_cndmask_b32_e32 v8, v13, v8, vcc_lo
	v_cmp_ne_u32_e32 vcc_lo, 0, v4
	v_lshrrev_b32_e32 v10, 2, v10
	v_cmp_eq_u32_e64 s0, 3, v12
	s_delay_alu instid0(VALU_DEP_4)
	v_and_b32_e32 v13, 7, v8
	s_wait_alu 0xfffd
	v_cndmask_b32_e64 v4, 0, 1, vcc_lo
	v_cmp_ne_u32_e32 vcc_lo, 0, v6
	v_lshrrev_b32_e32 v8, 2, v8
	v_cmp_lt_i32_e64 s1, 5, v13
	v_cmp_eq_u32_e64 s2, 3, v13
	s_wait_alu 0xfffd
	v_cndmask_b32_e64 v6, 0, 1, vcc_lo
	v_cmp_lt_i32_e32 vcc_lo, 5, v12
	v_lshl_or_b32 v4, v4, 9, 0x7c00
	s_delay_alu instid0(VALU_DEP_3)
	v_lshl_or_b32 v6, v6, 9, 0x7c00
	s_or_b32 vcc_lo, s0, vcc_lo
	s_wait_alu 0xfffe
	v_add_co_ci_u32_e32 v10, vcc_lo, 0, v10, vcc_lo
	s_or_b32 vcc_lo, s2, s1
	s_wait_alu 0xfffe
	v_add_co_ci_u32_e32 v8, vcc_lo, 0, v8, vcc_lo
	v_cmp_gt_i32_e32 vcc_lo, 31, v9
	s_wait_alu 0xfffd
	v_cndmask_b32_e32 v10, 0x7c00, v10, vcc_lo
	v_cmp_gt_i32_e32 vcc_lo, 31, v11
	s_wait_alu 0xfffd
	v_cndmask_b32_e32 v8, 0x7c00, v8, vcc_lo
	v_cmp_eq_u32_e32 vcc_lo, 0x40f, v9
	s_wait_alu 0xfffd
	v_cndmask_b32_e32 v4, v10, v4, vcc_lo
	v_cmp_eq_u32_e32 vcc_lo, 0x40f, v11
	s_delay_alu instid0(VALU_DEP_2)
	v_and_or_b32 v4, 0x8000, v5, v4
	s_wait_alu 0xfffd
	v_cndmask_b32_e32 v6, v8, v6, vcc_lo
	v_add_co_u32 v2, vcc_lo, v2, s4
	s_wait_alu 0xfffd
	v_add_co_ci_u32_e32 v3, vcc_lo, s5, v3, vcc_lo
	s_delay_alu instid0(VALU_DEP_3) | instskip(SKIP_1) | instid1(VALU_DEP_1)
	v_and_or_b32 v5, 0x8000, v7, v6
	v_and_b32_e32 v4, 0xffff, v4
	v_lshl_or_b32 v4, v5, 16, v4
	global_store_b32 v[2:3], v4, off
	global_load_b32 v6, v31, s[8:9] offset:324
	ds_load_2addr_b32 v[4:5], v34 offset0:81 offset1:108
	s_wait_dscnt 0x0
	v_lshrrev_b32_e32 v7, 16, v4
	s_wait_loadcnt 0x0
	v_lshrrev_b32_e32 v8, 16, v6
	s_delay_alu instid0(VALU_DEP_1) | instskip(SKIP_1) | instid1(VALU_DEP_2)
	v_mul_f16_e32 v9, v7, v8
	v_mul_f16_e32 v8, v4, v8
	v_fmac_f16_e32 v9, v4, v6
	s_delay_alu instid0(VALU_DEP_2) | instskip(NEXT) | instid1(VALU_DEP_2)
	v_fma_f16 v4, v6, v7, -v8
	v_cvt_f32_f16_e32 v6, v9
	s_delay_alu instid0(VALU_DEP_2) | instskip(NEXT) | instid1(VALU_DEP_2)
	v_cvt_f32_f16_e32 v4, v4
	v_cvt_f64_f32_e32 v[6:7], v6
	s_delay_alu instid0(VALU_DEP_2) | instskip(NEXT) | instid1(VALU_DEP_2)
	v_cvt_f64_f32_e32 v[8:9], v4
	v_mul_f64_e32 v[6:7], s[10:11], v[6:7]
	s_delay_alu instid0(VALU_DEP_2) | instskip(NEXT) | instid1(VALU_DEP_2)
	v_mul_f64_e32 v[8:9], s[10:11], v[8:9]
	v_and_or_b32 v4, 0x1ff, v7, v6
	s_delay_alu instid0(VALU_DEP_2)
	v_and_or_b32 v8, 0x1ff, v9, v8
	v_lshrrev_b32_e32 v6, 8, v7
	v_bfe_u32 v10, v7, 20, 11
	v_lshrrev_b32_e32 v11, 8, v9
	v_cmp_ne_u32_e32 vcc_lo, 0, v4
	v_bfe_u32 v12, v9, 20, 11
	v_lshrrev_b32_e32 v7, 16, v7
	v_sub_nc_u32_e32 v13, 0x3f1, v10
	v_add_nc_u32_e32 v10, 0xfffffc10, v10
	s_wait_alu 0xfffd
	v_cndmask_b32_e64 v4, 0, 1, vcc_lo
	v_cmp_ne_u32_e32 vcc_lo, 0, v8
	v_lshrrev_b32_e32 v9, 16, v9
	s_delay_alu instid0(VALU_DEP_3) | instskip(SKIP_4) | instid1(VALU_DEP_3)
	v_and_or_b32 v4, 0xffe, v6, v4
	s_wait_alu 0xfffd
	v_cndmask_b32_e64 v8, 0, 1, vcc_lo
	v_sub_nc_u32_e32 v6, 0x3f1, v12
	v_add_nc_u32_e32 v12, 0xfffffc10, v12
	v_and_or_b32 v8, 0xffe, v11, v8
	v_med3_i32 v11, v13, 0, 13
	v_or_b32_e32 v13, 0x1000, v4
	v_med3_i32 v6, v6, 0, 13
	s_delay_alu instid0(VALU_DEP_4) | instskip(NEXT) | instid1(VALU_DEP_3)
	v_or_b32_e32 v14, 0x1000, v8
	v_lshrrev_b32_e32 v15, v11, v13
	s_delay_alu instid0(VALU_DEP_2) | instskip(NEXT) | instid1(VALU_DEP_2)
	v_lshrrev_b32_e32 v16, v6, v14
	v_lshlrev_b32_e32 v11, v11, v15
	s_delay_alu instid0(VALU_DEP_2) | instskip(NEXT) | instid1(VALU_DEP_2)
	v_lshlrev_b32_e32 v6, v6, v16
	v_cmp_ne_u32_e32 vcc_lo, v11, v13
	v_lshl_or_b32 v13, v10, 12, v4
	s_wait_alu 0xfffd
	v_cndmask_b32_e64 v11, 0, 1, vcc_lo
	v_cmp_ne_u32_e32 vcc_lo, v6, v14
	v_lshl_or_b32 v14, v12, 12, v8
	s_delay_alu instid0(VALU_DEP_3) | instskip(SKIP_3) | instid1(VALU_DEP_2)
	v_or_b32_e32 v11, v15, v11
	s_wait_alu 0xfffd
	v_cndmask_b32_e64 v6, 0, 1, vcc_lo
	v_cmp_gt_i32_e32 vcc_lo, 1, v10
	v_or_b32_e32 v6, v16, v6
	s_wait_alu 0xfffd
	v_cndmask_b32_e32 v11, v13, v11, vcc_lo
	v_cmp_gt_i32_e32 vcc_lo, 1, v12
	s_wait_alu 0xfffd
	s_delay_alu instid0(VALU_DEP_2) | instskip(SKIP_2) | instid1(VALU_DEP_3)
	v_dual_cndmask_b32 v6, v14, v6 :: v_dual_and_b32 v13, 7, v11
	v_cmp_ne_u32_e32 vcc_lo, 0, v4
	v_lshrrev_b32_e32 v11, 2, v11
	v_cmp_eq_u32_e64 s0, 3, v13
	s_delay_alu instid0(VALU_DEP_4)
	v_and_b32_e32 v14, 7, v6
	s_wait_alu 0xfffd
	v_cndmask_b32_e64 v4, 0, 1, vcc_lo
	v_cmp_ne_u32_e32 vcc_lo, 0, v8
	v_lshrrev_b32_e32 v6, 2, v6
	v_cmp_lt_i32_e64 s1, 5, v14
	v_cmp_eq_u32_e64 s2, 3, v14
	s_wait_alu 0xfffd
	v_cndmask_b32_e64 v8, 0, 1, vcc_lo
	v_cmp_lt_i32_e32 vcc_lo, 5, v13
	v_lshl_or_b32 v4, v4, 9, 0x7c00
	s_delay_alu instid0(VALU_DEP_3)
	v_lshl_or_b32 v8, v8, 9, 0x7c00
	s_or_b32 vcc_lo, s0, vcc_lo
	s_wait_alu 0xfffe
	v_add_co_ci_u32_e32 v11, vcc_lo, 0, v11, vcc_lo
	s_or_b32 vcc_lo, s2, s1
	s_wait_alu 0xfffe
	v_add_co_ci_u32_e32 v6, vcc_lo, 0, v6, vcc_lo
	v_cmp_gt_i32_e32 vcc_lo, 31, v10
	s_wait_alu 0xfffd
	v_cndmask_b32_e32 v11, 0x7c00, v11, vcc_lo
	v_cmp_gt_i32_e32 vcc_lo, 31, v12
	s_wait_alu 0xfffd
	v_cndmask_b32_e32 v6, 0x7c00, v6, vcc_lo
	v_cmp_eq_u32_e32 vcc_lo, 0x40f, v10
	s_wait_alu 0xfffd
	v_cndmask_b32_e32 v4, v11, v4, vcc_lo
	v_cmp_eq_u32_e32 vcc_lo, 0x40f, v12
	s_delay_alu instid0(VALU_DEP_2)
	v_and_or_b32 v4, 0x8000, v7, v4
	s_wait_alu 0xfffd
	v_cndmask_b32_e32 v6, v6, v8, vcc_lo
	v_add_co_u32 v2, vcc_lo, v2, s4
	s_wait_alu 0xfffd
	v_add_co_ci_u32_e32 v3, vcc_lo, s5, v3, vcc_lo
	s_delay_alu instid0(VALU_DEP_3) | instskip(SKIP_1) | instid1(VALU_DEP_1)
	v_and_or_b32 v6, 0x8000, v9, v6
	v_and_b32_e32 v4, 0xffff, v4
	v_lshl_or_b32 v4, v6, 16, v4
	v_lshrrev_b32_e32 v6, 16, v5
	global_store_b32 v[2:3], v4, off
	global_load_b32 v4, v31, s[8:9] offset:432
	s_wait_loadcnt 0x0
	v_lshrrev_b32_e32 v7, 16, v4
	s_delay_alu instid0(VALU_DEP_1) | instskip(SKIP_1) | instid1(VALU_DEP_2)
	v_mul_f16_e32 v8, v6, v7
	v_mul_f16_e32 v7, v5, v7
	v_fmac_f16_e32 v8, v5, v4
	s_delay_alu instid0(VALU_DEP_2) | instskip(NEXT) | instid1(VALU_DEP_2)
	v_fma_f16 v4, v4, v6, -v7
	v_cvt_f32_f16_e32 v5, v8
	s_delay_alu instid0(VALU_DEP_2) | instskip(NEXT) | instid1(VALU_DEP_2)
	v_cvt_f32_f16_e32 v6, v4
	v_cvt_f64_f32_e32 v[4:5], v5
	s_delay_alu instid0(VALU_DEP_2) | instskip(NEXT) | instid1(VALU_DEP_2)
	v_cvt_f64_f32_e32 v[6:7], v6
	v_mul_f64_e32 v[4:5], s[10:11], v[4:5]
	s_delay_alu instid0(VALU_DEP_2) | instskip(NEXT) | instid1(VALU_DEP_2)
	v_mul_f64_e32 v[6:7], s[10:11], v[6:7]
	v_and_or_b32 v4, 0x1ff, v5, v4
	s_delay_alu instid0(VALU_DEP_2)
	v_and_or_b32 v6, 0x1ff, v7, v6
	v_lshrrev_b32_e32 v8, 8, v5
	v_bfe_u32 v9, v5, 20, 11
	v_lshrrev_b32_e32 v10, 8, v7
	v_cmp_ne_u32_e32 vcc_lo, 0, v4
	v_bfe_u32 v11, v7, 20, 11
	v_lshrrev_b32_e32 v5, 16, v5
	v_sub_nc_u32_e32 v12, 0x3f1, v9
	v_add_nc_u32_e32 v9, 0xfffffc10, v9
	s_wait_alu 0xfffd
	v_cndmask_b32_e64 v4, 0, 1, vcc_lo
	v_cmp_ne_u32_e32 vcc_lo, 0, v6
	v_lshrrev_b32_e32 v7, 16, v7
	s_delay_alu instid0(VALU_DEP_3) | instskip(SKIP_4) | instid1(VALU_DEP_3)
	v_and_or_b32 v4, 0xffe, v8, v4
	s_wait_alu 0xfffd
	v_cndmask_b32_e64 v6, 0, 1, vcc_lo
	v_sub_nc_u32_e32 v8, 0x3f1, v11
	v_add_nc_u32_e32 v11, 0xfffffc10, v11
	v_and_or_b32 v6, 0xffe, v10, v6
	v_med3_i32 v10, v12, 0, 13
	v_or_b32_e32 v12, 0x1000, v4
	v_med3_i32 v8, v8, 0, 13
	s_delay_alu instid0(VALU_DEP_4) | instskip(NEXT) | instid1(VALU_DEP_3)
	v_or_b32_e32 v13, 0x1000, v6
	v_lshrrev_b32_e32 v14, v10, v12
	s_delay_alu instid0(VALU_DEP_2) | instskip(NEXT) | instid1(VALU_DEP_2)
	v_lshrrev_b32_e32 v15, v8, v13
	v_lshlrev_b32_e32 v10, v10, v14
	s_delay_alu instid0(VALU_DEP_2) | instskip(NEXT) | instid1(VALU_DEP_2)
	v_lshlrev_b32_e32 v8, v8, v15
	v_cmp_ne_u32_e32 vcc_lo, v10, v12
	v_lshl_or_b32 v12, v9, 12, v4
	s_wait_alu 0xfffd
	v_cndmask_b32_e64 v10, 0, 1, vcc_lo
	v_cmp_ne_u32_e32 vcc_lo, v8, v13
	v_lshl_or_b32 v13, v11, 12, v6
	s_delay_alu instid0(VALU_DEP_3) | instskip(SKIP_3) | instid1(VALU_DEP_2)
	v_or_b32_e32 v10, v14, v10
	s_wait_alu 0xfffd
	v_cndmask_b32_e64 v8, 0, 1, vcc_lo
	v_cmp_gt_i32_e32 vcc_lo, 1, v9
	v_or_b32_e32 v8, v15, v8
	s_wait_alu 0xfffd
	v_cndmask_b32_e32 v10, v12, v10, vcc_lo
	v_cmp_gt_i32_e32 vcc_lo, 1, v11
	s_delay_alu instid0(VALU_DEP_2)
	v_and_b32_e32 v12, 7, v10
	s_wait_alu 0xfffd
	v_cndmask_b32_e32 v8, v13, v8, vcc_lo
	v_cmp_ne_u32_e32 vcc_lo, 0, v4
	v_lshrrev_b32_e32 v10, 2, v10
	v_cmp_eq_u32_e64 s0, 3, v12
	s_delay_alu instid0(VALU_DEP_4)
	v_and_b32_e32 v13, 7, v8
	s_wait_alu 0xfffd
	v_cndmask_b32_e64 v4, 0, 1, vcc_lo
	v_cmp_ne_u32_e32 vcc_lo, 0, v6
	v_lshrrev_b32_e32 v8, 2, v8
	v_cmp_lt_i32_e64 s1, 5, v13
	v_cmp_eq_u32_e64 s2, 3, v13
	s_wait_alu 0xfffd
	v_cndmask_b32_e64 v6, 0, 1, vcc_lo
	v_cmp_lt_i32_e32 vcc_lo, 5, v12
	v_lshl_or_b32 v4, v4, 9, 0x7c00
	s_delay_alu instid0(VALU_DEP_3)
	v_lshl_or_b32 v6, v6, 9, 0x7c00
	s_or_b32 vcc_lo, s0, vcc_lo
	s_wait_alu 0xfffe
	v_add_co_ci_u32_e32 v10, vcc_lo, 0, v10, vcc_lo
	s_or_b32 vcc_lo, s2, s1
	s_wait_alu 0xfffe
	v_add_co_ci_u32_e32 v8, vcc_lo, 0, v8, vcc_lo
	v_cmp_gt_i32_e32 vcc_lo, 31, v9
	s_wait_alu 0xfffd
	v_cndmask_b32_e32 v10, 0x7c00, v10, vcc_lo
	v_cmp_gt_i32_e32 vcc_lo, 31, v11
	s_wait_alu 0xfffd
	v_cndmask_b32_e32 v8, 0x7c00, v8, vcc_lo
	v_cmp_eq_u32_e32 vcc_lo, 0x40f, v9
	s_wait_alu 0xfffd
	v_cndmask_b32_e32 v4, v10, v4, vcc_lo
	v_cmp_eq_u32_e32 vcc_lo, 0x40f, v11
	s_delay_alu instid0(VALU_DEP_2)
	v_and_or_b32 v4, 0x8000, v5, v4
	s_wait_alu 0xfffd
	v_cndmask_b32_e32 v6, v8, v6, vcc_lo
	v_add_co_u32 v2, vcc_lo, v2, s4
	s_wait_alu 0xfffd
	v_add_co_ci_u32_e32 v3, vcc_lo, s5, v3, vcc_lo
	s_delay_alu instid0(VALU_DEP_3) | instskip(SKIP_1) | instid1(VALU_DEP_1)
	v_and_or_b32 v5, 0x8000, v7, v6
	v_and_b32_e32 v4, 0xffff, v4
	v_lshl_or_b32 v4, v5, 16, v4
	global_store_b32 v[2:3], v4, off
	global_load_b32 v6, v31, s[8:9] offset:540
	ds_load_2addr_b32 v[4:5], v34 offset0:135 offset1:162
	s_wait_dscnt 0x0
	v_lshrrev_b32_e32 v7, 16, v4
	s_wait_loadcnt 0x0
	v_lshrrev_b32_e32 v8, 16, v6
	s_delay_alu instid0(VALU_DEP_1) | instskip(SKIP_1) | instid1(VALU_DEP_2)
	v_mul_f16_e32 v9, v7, v8
	v_mul_f16_e32 v8, v4, v8
	v_fmac_f16_e32 v9, v4, v6
	s_delay_alu instid0(VALU_DEP_2) | instskip(NEXT) | instid1(VALU_DEP_2)
	v_fma_f16 v4, v6, v7, -v8
	v_cvt_f32_f16_e32 v6, v9
	s_delay_alu instid0(VALU_DEP_2) | instskip(NEXT) | instid1(VALU_DEP_2)
	v_cvt_f32_f16_e32 v4, v4
	v_cvt_f64_f32_e32 v[6:7], v6
	s_delay_alu instid0(VALU_DEP_2) | instskip(NEXT) | instid1(VALU_DEP_2)
	v_cvt_f64_f32_e32 v[8:9], v4
	v_mul_f64_e32 v[6:7], s[10:11], v[6:7]
	s_delay_alu instid0(VALU_DEP_2) | instskip(NEXT) | instid1(VALU_DEP_2)
	v_mul_f64_e32 v[8:9], s[10:11], v[8:9]
	v_and_or_b32 v4, 0x1ff, v7, v6
	s_delay_alu instid0(VALU_DEP_2)
	v_and_or_b32 v8, 0x1ff, v9, v8
	v_lshrrev_b32_e32 v6, 8, v7
	v_bfe_u32 v10, v7, 20, 11
	v_lshrrev_b32_e32 v11, 8, v9
	v_cmp_ne_u32_e32 vcc_lo, 0, v4
	v_bfe_u32 v12, v9, 20, 11
	v_lshrrev_b32_e32 v7, 16, v7
	v_sub_nc_u32_e32 v13, 0x3f1, v10
	v_add_nc_u32_e32 v10, 0xfffffc10, v10
	s_wait_alu 0xfffd
	v_cndmask_b32_e64 v4, 0, 1, vcc_lo
	v_cmp_ne_u32_e32 vcc_lo, 0, v8
	v_lshrrev_b32_e32 v9, 16, v9
	s_delay_alu instid0(VALU_DEP_3) | instskip(SKIP_4) | instid1(VALU_DEP_3)
	v_and_or_b32 v4, 0xffe, v6, v4
	s_wait_alu 0xfffd
	v_cndmask_b32_e64 v8, 0, 1, vcc_lo
	v_sub_nc_u32_e32 v6, 0x3f1, v12
	v_add_nc_u32_e32 v12, 0xfffffc10, v12
	v_and_or_b32 v8, 0xffe, v11, v8
	v_med3_i32 v11, v13, 0, 13
	v_or_b32_e32 v13, 0x1000, v4
	v_med3_i32 v6, v6, 0, 13
	s_delay_alu instid0(VALU_DEP_4) | instskip(NEXT) | instid1(VALU_DEP_3)
	v_or_b32_e32 v14, 0x1000, v8
	v_lshrrev_b32_e32 v15, v11, v13
	s_delay_alu instid0(VALU_DEP_2) | instskip(NEXT) | instid1(VALU_DEP_2)
	v_lshrrev_b32_e32 v16, v6, v14
	v_lshlrev_b32_e32 v11, v11, v15
	s_delay_alu instid0(VALU_DEP_2) | instskip(NEXT) | instid1(VALU_DEP_2)
	v_lshlrev_b32_e32 v6, v6, v16
	v_cmp_ne_u32_e32 vcc_lo, v11, v13
	v_lshl_or_b32 v13, v10, 12, v4
	s_wait_alu 0xfffd
	v_cndmask_b32_e64 v11, 0, 1, vcc_lo
	v_cmp_ne_u32_e32 vcc_lo, v6, v14
	v_lshl_or_b32 v14, v12, 12, v8
	s_delay_alu instid0(VALU_DEP_3) | instskip(SKIP_3) | instid1(VALU_DEP_2)
	v_or_b32_e32 v11, v15, v11
	s_wait_alu 0xfffd
	v_cndmask_b32_e64 v6, 0, 1, vcc_lo
	v_cmp_gt_i32_e32 vcc_lo, 1, v10
	v_or_b32_e32 v6, v16, v6
	s_wait_alu 0xfffd
	v_cndmask_b32_e32 v11, v13, v11, vcc_lo
	v_cmp_gt_i32_e32 vcc_lo, 1, v12
	s_wait_alu 0xfffd
	s_delay_alu instid0(VALU_DEP_2) | instskip(SKIP_2) | instid1(VALU_DEP_3)
	v_dual_cndmask_b32 v6, v14, v6 :: v_dual_and_b32 v13, 7, v11
	v_cmp_ne_u32_e32 vcc_lo, 0, v4
	v_lshrrev_b32_e32 v11, 2, v11
	v_cmp_eq_u32_e64 s0, 3, v13
	s_delay_alu instid0(VALU_DEP_4)
	v_and_b32_e32 v14, 7, v6
	s_wait_alu 0xfffd
	v_cndmask_b32_e64 v4, 0, 1, vcc_lo
	v_cmp_ne_u32_e32 vcc_lo, 0, v8
	v_lshrrev_b32_e32 v6, 2, v6
	v_cmp_lt_i32_e64 s1, 5, v14
	v_cmp_eq_u32_e64 s2, 3, v14
	s_wait_alu 0xfffd
	v_cndmask_b32_e64 v8, 0, 1, vcc_lo
	v_cmp_lt_i32_e32 vcc_lo, 5, v13
	v_lshl_or_b32 v4, v4, 9, 0x7c00
	s_delay_alu instid0(VALU_DEP_3)
	v_lshl_or_b32 v8, v8, 9, 0x7c00
	s_or_b32 vcc_lo, s0, vcc_lo
	s_wait_alu 0xfffe
	v_add_co_ci_u32_e32 v11, vcc_lo, 0, v11, vcc_lo
	s_or_b32 vcc_lo, s2, s1
	s_wait_alu 0xfffe
	v_add_co_ci_u32_e32 v6, vcc_lo, 0, v6, vcc_lo
	v_cmp_gt_i32_e32 vcc_lo, 31, v10
	s_wait_alu 0xfffd
	v_cndmask_b32_e32 v11, 0x7c00, v11, vcc_lo
	v_cmp_gt_i32_e32 vcc_lo, 31, v12
	s_wait_alu 0xfffd
	v_cndmask_b32_e32 v6, 0x7c00, v6, vcc_lo
	v_cmp_eq_u32_e32 vcc_lo, 0x40f, v10
	s_wait_alu 0xfffd
	v_cndmask_b32_e32 v4, v11, v4, vcc_lo
	v_cmp_eq_u32_e32 vcc_lo, 0x40f, v12
	s_delay_alu instid0(VALU_DEP_2)
	v_and_or_b32 v4, 0x8000, v7, v4
	s_wait_alu 0xfffd
	v_cndmask_b32_e32 v6, v6, v8, vcc_lo
	v_add_co_u32 v2, vcc_lo, v2, s4
	s_wait_alu 0xfffd
	v_add_co_ci_u32_e32 v3, vcc_lo, s5, v3, vcc_lo
	s_delay_alu instid0(VALU_DEP_3) | instskip(SKIP_1) | instid1(VALU_DEP_1)
	v_and_or_b32 v6, 0x8000, v9, v6
	v_and_b32_e32 v4, 0xffff, v4
	v_lshl_or_b32 v4, v6, 16, v4
	v_lshrrev_b32_e32 v6, 16, v5
	global_store_b32 v[2:3], v4, off
	global_load_b32 v4, v31, s[8:9] offset:648
	s_wait_loadcnt 0x0
	v_lshrrev_b32_e32 v7, 16, v4
	s_delay_alu instid0(VALU_DEP_1) | instskip(SKIP_1) | instid1(VALU_DEP_2)
	v_mul_f16_e32 v8, v6, v7
	v_mul_f16_e32 v7, v5, v7
	v_fmac_f16_e32 v8, v5, v4
	s_delay_alu instid0(VALU_DEP_2) | instskip(NEXT) | instid1(VALU_DEP_2)
	v_fma_f16 v4, v4, v6, -v7
	v_cvt_f32_f16_e32 v5, v8
	s_delay_alu instid0(VALU_DEP_2) | instskip(NEXT) | instid1(VALU_DEP_2)
	v_cvt_f32_f16_e32 v6, v4
	v_cvt_f64_f32_e32 v[4:5], v5
	s_delay_alu instid0(VALU_DEP_2) | instskip(NEXT) | instid1(VALU_DEP_2)
	v_cvt_f64_f32_e32 v[6:7], v6
	v_mul_f64_e32 v[4:5], s[10:11], v[4:5]
	s_delay_alu instid0(VALU_DEP_2) | instskip(NEXT) | instid1(VALU_DEP_2)
	v_mul_f64_e32 v[6:7], s[10:11], v[6:7]
	v_and_or_b32 v4, 0x1ff, v5, v4
	s_delay_alu instid0(VALU_DEP_2)
	v_and_or_b32 v6, 0x1ff, v7, v6
	v_lshrrev_b32_e32 v8, 8, v5
	v_bfe_u32 v9, v5, 20, 11
	v_lshrrev_b32_e32 v10, 8, v7
	v_cmp_ne_u32_e32 vcc_lo, 0, v4
	v_bfe_u32 v11, v7, 20, 11
	v_lshrrev_b32_e32 v5, 16, v5
	v_sub_nc_u32_e32 v12, 0x3f1, v9
	v_add_nc_u32_e32 v9, 0xfffffc10, v9
	s_wait_alu 0xfffd
	v_cndmask_b32_e64 v4, 0, 1, vcc_lo
	v_cmp_ne_u32_e32 vcc_lo, 0, v6
	v_lshrrev_b32_e32 v7, 16, v7
	s_delay_alu instid0(VALU_DEP_3) | instskip(SKIP_4) | instid1(VALU_DEP_3)
	v_and_or_b32 v4, 0xffe, v8, v4
	s_wait_alu 0xfffd
	v_cndmask_b32_e64 v6, 0, 1, vcc_lo
	v_sub_nc_u32_e32 v8, 0x3f1, v11
	v_add_nc_u32_e32 v11, 0xfffffc10, v11
	v_and_or_b32 v6, 0xffe, v10, v6
	v_med3_i32 v10, v12, 0, 13
	v_or_b32_e32 v12, 0x1000, v4
	v_med3_i32 v8, v8, 0, 13
	s_delay_alu instid0(VALU_DEP_4) | instskip(NEXT) | instid1(VALU_DEP_3)
	v_or_b32_e32 v13, 0x1000, v6
	v_lshrrev_b32_e32 v14, v10, v12
	s_delay_alu instid0(VALU_DEP_2) | instskip(NEXT) | instid1(VALU_DEP_2)
	v_lshrrev_b32_e32 v15, v8, v13
	v_lshlrev_b32_e32 v10, v10, v14
	s_delay_alu instid0(VALU_DEP_2) | instskip(NEXT) | instid1(VALU_DEP_2)
	v_lshlrev_b32_e32 v8, v8, v15
	v_cmp_ne_u32_e32 vcc_lo, v10, v12
	v_lshl_or_b32 v12, v9, 12, v4
	s_wait_alu 0xfffd
	v_cndmask_b32_e64 v10, 0, 1, vcc_lo
	v_cmp_ne_u32_e32 vcc_lo, v8, v13
	v_lshl_or_b32 v13, v11, 12, v6
	s_delay_alu instid0(VALU_DEP_3) | instskip(SKIP_3) | instid1(VALU_DEP_2)
	v_or_b32_e32 v10, v14, v10
	s_wait_alu 0xfffd
	v_cndmask_b32_e64 v8, 0, 1, vcc_lo
	v_cmp_gt_i32_e32 vcc_lo, 1, v9
	v_or_b32_e32 v8, v15, v8
	s_wait_alu 0xfffd
	v_cndmask_b32_e32 v10, v12, v10, vcc_lo
	v_cmp_gt_i32_e32 vcc_lo, 1, v11
	s_delay_alu instid0(VALU_DEP_2)
	v_and_b32_e32 v12, 7, v10
	s_wait_alu 0xfffd
	v_cndmask_b32_e32 v8, v13, v8, vcc_lo
	v_cmp_ne_u32_e32 vcc_lo, 0, v4
	v_lshrrev_b32_e32 v10, 2, v10
	v_cmp_eq_u32_e64 s0, 3, v12
	s_delay_alu instid0(VALU_DEP_4)
	v_and_b32_e32 v13, 7, v8
	s_wait_alu 0xfffd
	v_cndmask_b32_e64 v4, 0, 1, vcc_lo
	v_cmp_ne_u32_e32 vcc_lo, 0, v6
	v_lshrrev_b32_e32 v8, 2, v8
	v_cmp_lt_i32_e64 s1, 5, v13
	v_cmp_eq_u32_e64 s2, 3, v13
	s_wait_alu 0xfffd
	v_cndmask_b32_e64 v6, 0, 1, vcc_lo
	v_cmp_lt_i32_e32 vcc_lo, 5, v12
	v_lshl_or_b32 v4, v4, 9, 0x7c00
	s_delay_alu instid0(VALU_DEP_3)
	v_lshl_or_b32 v6, v6, 9, 0x7c00
	s_or_b32 vcc_lo, s0, vcc_lo
	s_wait_alu 0xfffe
	v_add_co_ci_u32_e32 v10, vcc_lo, 0, v10, vcc_lo
	s_or_b32 vcc_lo, s2, s1
	s_wait_alu 0xfffe
	v_add_co_ci_u32_e32 v8, vcc_lo, 0, v8, vcc_lo
	v_cmp_gt_i32_e32 vcc_lo, 31, v9
	s_wait_alu 0xfffd
	v_cndmask_b32_e32 v10, 0x7c00, v10, vcc_lo
	v_cmp_gt_i32_e32 vcc_lo, 31, v11
	s_wait_alu 0xfffd
	v_cndmask_b32_e32 v8, 0x7c00, v8, vcc_lo
	v_cmp_eq_u32_e32 vcc_lo, 0x40f, v9
	s_wait_alu 0xfffd
	v_cndmask_b32_e32 v4, v10, v4, vcc_lo
	v_cmp_eq_u32_e32 vcc_lo, 0x40f, v11
	s_delay_alu instid0(VALU_DEP_2)
	v_and_or_b32 v4, 0x8000, v5, v4
	s_wait_alu 0xfffd
	v_cndmask_b32_e32 v6, v8, v6, vcc_lo
	v_add_co_u32 v2, vcc_lo, v2, s4
	s_wait_alu 0xfffd
	v_add_co_ci_u32_e32 v3, vcc_lo, s5, v3, vcc_lo
	s_delay_alu instid0(VALU_DEP_3) | instskip(SKIP_1) | instid1(VALU_DEP_1)
	v_and_or_b32 v5, 0x8000, v7, v6
	v_and_b32_e32 v4, 0xffff, v4
	v_lshl_or_b32 v4, v5, 16, v4
	global_store_b32 v[2:3], v4, off
	global_load_b32 v6, v31, s[8:9] offset:756
	ds_load_2addr_b32 v[4:5], v34 offset0:189 offset1:216
	s_wait_dscnt 0x0
	v_lshrrev_b32_e32 v7, 16, v4
	s_wait_loadcnt 0x0
	v_lshrrev_b32_e32 v8, 16, v6
	s_delay_alu instid0(VALU_DEP_1) | instskip(SKIP_1) | instid1(VALU_DEP_2)
	v_mul_f16_e32 v9, v7, v8
	v_mul_f16_e32 v8, v4, v8
	v_fmac_f16_e32 v9, v4, v6
	s_delay_alu instid0(VALU_DEP_2) | instskip(NEXT) | instid1(VALU_DEP_2)
	v_fma_f16 v4, v6, v7, -v8
	v_cvt_f32_f16_e32 v6, v9
	s_delay_alu instid0(VALU_DEP_2) | instskip(NEXT) | instid1(VALU_DEP_2)
	v_cvt_f32_f16_e32 v4, v4
	v_cvt_f64_f32_e32 v[6:7], v6
	s_delay_alu instid0(VALU_DEP_2) | instskip(NEXT) | instid1(VALU_DEP_2)
	v_cvt_f64_f32_e32 v[8:9], v4
	v_mul_f64_e32 v[6:7], s[10:11], v[6:7]
	s_delay_alu instid0(VALU_DEP_2) | instskip(NEXT) | instid1(VALU_DEP_2)
	v_mul_f64_e32 v[8:9], s[10:11], v[8:9]
	v_and_or_b32 v4, 0x1ff, v7, v6
	s_delay_alu instid0(VALU_DEP_2)
	v_and_or_b32 v8, 0x1ff, v9, v8
	v_lshrrev_b32_e32 v6, 8, v7
	v_bfe_u32 v10, v7, 20, 11
	v_lshrrev_b32_e32 v11, 8, v9
	v_cmp_ne_u32_e32 vcc_lo, 0, v4
	v_bfe_u32 v12, v9, 20, 11
	v_lshrrev_b32_e32 v7, 16, v7
	v_sub_nc_u32_e32 v13, 0x3f1, v10
	v_add_nc_u32_e32 v10, 0xfffffc10, v10
	s_wait_alu 0xfffd
	v_cndmask_b32_e64 v4, 0, 1, vcc_lo
	v_cmp_ne_u32_e32 vcc_lo, 0, v8
	v_lshrrev_b32_e32 v9, 16, v9
	s_delay_alu instid0(VALU_DEP_3) | instskip(SKIP_4) | instid1(VALU_DEP_3)
	v_and_or_b32 v4, 0xffe, v6, v4
	s_wait_alu 0xfffd
	v_cndmask_b32_e64 v8, 0, 1, vcc_lo
	v_sub_nc_u32_e32 v6, 0x3f1, v12
	v_add_nc_u32_e32 v12, 0xfffffc10, v12
	v_and_or_b32 v8, 0xffe, v11, v8
	v_med3_i32 v11, v13, 0, 13
	v_or_b32_e32 v13, 0x1000, v4
	v_med3_i32 v6, v6, 0, 13
	s_delay_alu instid0(VALU_DEP_4) | instskip(NEXT) | instid1(VALU_DEP_3)
	v_or_b32_e32 v14, 0x1000, v8
	v_lshrrev_b32_e32 v15, v11, v13
	s_delay_alu instid0(VALU_DEP_2) | instskip(NEXT) | instid1(VALU_DEP_2)
	v_lshrrev_b32_e32 v16, v6, v14
	v_lshlrev_b32_e32 v11, v11, v15
	s_delay_alu instid0(VALU_DEP_2) | instskip(NEXT) | instid1(VALU_DEP_2)
	v_lshlrev_b32_e32 v6, v6, v16
	v_cmp_ne_u32_e32 vcc_lo, v11, v13
	v_lshl_or_b32 v13, v10, 12, v4
	s_wait_alu 0xfffd
	v_cndmask_b32_e64 v11, 0, 1, vcc_lo
	v_cmp_ne_u32_e32 vcc_lo, v6, v14
	v_lshl_or_b32 v14, v12, 12, v8
	s_delay_alu instid0(VALU_DEP_3) | instskip(SKIP_3) | instid1(VALU_DEP_2)
	v_or_b32_e32 v11, v15, v11
	s_wait_alu 0xfffd
	v_cndmask_b32_e64 v6, 0, 1, vcc_lo
	v_cmp_gt_i32_e32 vcc_lo, 1, v10
	v_or_b32_e32 v6, v16, v6
	s_wait_alu 0xfffd
	v_cndmask_b32_e32 v11, v13, v11, vcc_lo
	v_cmp_gt_i32_e32 vcc_lo, 1, v12
	s_wait_alu 0xfffd
	s_delay_alu instid0(VALU_DEP_2) | instskip(SKIP_2) | instid1(VALU_DEP_3)
	v_dual_cndmask_b32 v6, v14, v6 :: v_dual_and_b32 v13, 7, v11
	v_cmp_ne_u32_e32 vcc_lo, 0, v4
	v_lshrrev_b32_e32 v11, 2, v11
	v_cmp_eq_u32_e64 s0, 3, v13
	s_delay_alu instid0(VALU_DEP_4)
	v_and_b32_e32 v14, 7, v6
	s_wait_alu 0xfffd
	v_cndmask_b32_e64 v4, 0, 1, vcc_lo
	v_cmp_ne_u32_e32 vcc_lo, 0, v8
	v_lshrrev_b32_e32 v6, 2, v6
	v_cmp_lt_i32_e64 s1, 5, v14
	v_cmp_eq_u32_e64 s2, 3, v14
	s_wait_alu 0xfffd
	v_cndmask_b32_e64 v8, 0, 1, vcc_lo
	v_cmp_lt_i32_e32 vcc_lo, 5, v13
	v_lshl_or_b32 v4, v4, 9, 0x7c00
	s_delay_alu instid0(VALU_DEP_3)
	v_lshl_or_b32 v8, v8, 9, 0x7c00
	s_or_b32 vcc_lo, s0, vcc_lo
	s_wait_alu 0xfffe
	v_add_co_ci_u32_e32 v11, vcc_lo, 0, v11, vcc_lo
	s_or_b32 vcc_lo, s2, s1
	s_wait_alu 0xfffe
	v_add_co_ci_u32_e32 v6, vcc_lo, 0, v6, vcc_lo
	v_cmp_gt_i32_e32 vcc_lo, 31, v10
	s_wait_alu 0xfffd
	v_cndmask_b32_e32 v11, 0x7c00, v11, vcc_lo
	v_cmp_gt_i32_e32 vcc_lo, 31, v12
	s_wait_alu 0xfffd
	v_cndmask_b32_e32 v6, 0x7c00, v6, vcc_lo
	v_cmp_eq_u32_e32 vcc_lo, 0x40f, v10
	s_wait_alu 0xfffd
	v_cndmask_b32_e32 v4, v11, v4, vcc_lo
	v_cmp_eq_u32_e32 vcc_lo, 0x40f, v12
	s_delay_alu instid0(VALU_DEP_2)
	v_and_or_b32 v4, 0x8000, v7, v4
	s_wait_alu 0xfffd
	v_cndmask_b32_e32 v6, v6, v8, vcc_lo
	v_add_co_u32 v2, vcc_lo, v2, s4
	s_wait_alu 0xfffd
	v_add_co_ci_u32_e32 v3, vcc_lo, s5, v3, vcc_lo
	s_delay_alu instid0(VALU_DEP_3) | instskip(SKIP_1) | instid1(VALU_DEP_1)
	v_and_or_b32 v6, 0x8000, v9, v6
	v_and_b32_e32 v4, 0xffff, v4
	v_lshl_or_b32 v4, v6, 16, v4
	v_lshrrev_b32_e32 v6, 16, v5
	global_store_b32 v[2:3], v4, off
	global_load_b32 v4, v31, s[8:9] offset:864
	s_wait_loadcnt 0x0
	v_lshrrev_b32_e32 v7, 16, v4
	s_delay_alu instid0(VALU_DEP_1) | instskip(SKIP_1) | instid1(VALU_DEP_2)
	v_mul_f16_e32 v8, v6, v7
	v_mul_f16_e32 v7, v5, v7
	v_fmac_f16_e32 v8, v5, v4
	s_delay_alu instid0(VALU_DEP_2) | instskip(NEXT) | instid1(VALU_DEP_2)
	v_fma_f16 v4, v4, v6, -v7
	v_cvt_f32_f16_e32 v5, v8
	s_delay_alu instid0(VALU_DEP_2) | instskip(NEXT) | instid1(VALU_DEP_2)
	v_cvt_f32_f16_e32 v6, v4
	v_cvt_f64_f32_e32 v[4:5], v5
	s_delay_alu instid0(VALU_DEP_2) | instskip(NEXT) | instid1(VALU_DEP_2)
	v_cvt_f64_f32_e32 v[6:7], v6
	v_mul_f64_e32 v[4:5], s[10:11], v[4:5]
	s_delay_alu instid0(VALU_DEP_2) | instskip(NEXT) | instid1(VALU_DEP_2)
	v_mul_f64_e32 v[6:7], s[10:11], v[6:7]
	v_and_or_b32 v4, 0x1ff, v5, v4
	s_delay_alu instid0(VALU_DEP_2)
	v_and_or_b32 v6, 0x1ff, v7, v6
	v_lshrrev_b32_e32 v8, 8, v5
	v_bfe_u32 v9, v5, 20, 11
	v_lshrrev_b32_e32 v10, 8, v7
	v_cmp_ne_u32_e32 vcc_lo, 0, v4
	v_bfe_u32 v11, v7, 20, 11
	v_lshrrev_b32_e32 v5, 16, v5
	v_sub_nc_u32_e32 v12, 0x3f1, v9
	v_add_nc_u32_e32 v9, 0xfffffc10, v9
	s_wait_alu 0xfffd
	v_cndmask_b32_e64 v4, 0, 1, vcc_lo
	v_cmp_ne_u32_e32 vcc_lo, 0, v6
	v_lshrrev_b32_e32 v7, 16, v7
	s_delay_alu instid0(VALU_DEP_3) | instskip(SKIP_4) | instid1(VALU_DEP_3)
	v_and_or_b32 v4, 0xffe, v8, v4
	s_wait_alu 0xfffd
	v_cndmask_b32_e64 v6, 0, 1, vcc_lo
	v_sub_nc_u32_e32 v8, 0x3f1, v11
	v_add_nc_u32_e32 v11, 0xfffffc10, v11
	v_and_or_b32 v6, 0xffe, v10, v6
	v_med3_i32 v10, v12, 0, 13
	v_or_b32_e32 v12, 0x1000, v4
	v_med3_i32 v8, v8, 0, 13
	s_delay_alu instid0(VALU_DEP_4) | instskip(NEXT) | instid1(VALU_DEP_3)
	v_or_b32_e32 v13, 0x1000, v6
	v_lshrrev_b32_e32 v14, v10, v12
	s_delay_alu instid0(VALU_DEP_2) | instskip(NEXT) | instid1(VALU_DEP_2)
	v_lshrrev_b32_e32 v15, v8, v13
	v_lshlrev_b32_e32 v10, v10, v14
	s_delay_alu instid0(VALU_DEP_2) | instskip(NEXT) | instid1(VALU_DEP_2)
	v_lshlrev_b32_e32 v8, v8, v15
	v_cmp_ne_u32_e32 vcc_lo, v10, v12
	v_lshl_or_b32 v12, v9, 12, v4
	s_wait_alu 0xfffd
	v_cndmask_b32_e64 v10, 0, 1, vcc_lo
	v_cmp_ne_u32_e32 vcc_lo, v8, v13
	v_lshl_or_b32 v13, v11, 12, v6
	s_delay_alu instid0(VALU_DEP_3) | instskip(SKIP_3) | instid1(VALU_DEP_2)
	v_or_b32_e32 v10, v14, v10
	s_wait_alu 0xfffd
	v_cndmask_b32_e64 v8, 0, 1, vcc_lo
	v_cmp_gt_i32_e32 vcc_lo, 1, v9
	v_or_b32_e32 v8, v15, v8
	s_wait_alu 0xfffd
	v_cndmask_b32_e32 v10, v12, v10, vcc_lo
	v_cmp_gt_i32_e32 vcc_lo, 1, v11
	s_delay_alu instid0(VALU_DEP_2)
	v_and_b32_e32 v12, 7, v10
	s_wait_alu 0xfffd
	v_cndmask_b32_e32 v8, v13, v8, vcc_lo
	v_cmp_ne_u32_e32 vcc_lo, 0, v4
	v_lshrrev_b32_e32 v10, 2, v10
	v_cmp_eq_u32_e64 s0, 3, v12
	s_delay_alu instid0(VALU_DEP_4)
	v_and_b32_e32 v13, 7, v8
	s_wait_alu 0xfffd
	v_cndmask_b32_e64 v4, 0, 1, vcc_lo
	v_cmp_ne_u32_e32 vcc_lo, 0, v6
	v_lshrrev_b32_e32 v8, 2, v8
	v_cmp_lt_i32_e64 s1, 5, v13
	v_cmp_eq_u32_e64 s2, 3, v13
	s_wait_alu 0xfffd
	v_cndmask_b32_e64 v6, 0, 1, vcc_lo
	v_cmp_lt_i32_e32 vcc_lo, 5, v12
	v_lshl_or_b32 v4, v4, 9, 0x7c00
	s_delay_alu instid0(VALU_DEP_3)
	v_lshl_or_b32 v6, v6, 9, 0x7c00
	s_or_b32 vcc_lo, s0, vcc_lo
	s_wait_alu 0xfffe
	v_add_co_ci_u32_e32 v10, vcc_lo, 0, v10, vcc_lo
	s_or_b32 vcc_lo, s2, s1
	s_wait_alu 0xfffe
	v_add_co_ci_u32_e32 v8, vcc_lo, 0, v8, vcc_lo
	v_cmp_gt_i32_e32 vcc_lo, 31, v9
	s_wait_alu 0xfffd
	v_cndmask_b32_e32 v10, 0x7c00, v10, vcc_lo
	v_cmp_gt_i32_e32 vcc_lo, 31, v11
	s_wait_alu 0xfffd
	v_cndmask_b32_e32 v8, 0x7c00, v8, vcc_lo
	v_cmp_eq_u32_e32 vcc_lo, 0x40f, v9
	s_wait_alu 0xfffd
	v_cndmask_b32_e32 v4, v10, v4, vcc_lo
	v_cmp_eq_u32_e32 vcc_lo, 0x40f, v11
	s_delay_alu instid0(VALU_DEP_2)
	v_and_or_b32 v4, 0x8000, v5, v4
	s_wait_alu 0xfffd
	v_cndmask_b32_e32 v6, v8, v6, vcc_lo
	v_add_co_u32 v2, vcc_lo, v2, s4
	s_wait_alu 0xfffd
	v_add_co_ci_u32_e32 v3, vcc_lo, s5, v3, vcc_lo
	s_delay_alu instid0(VALU_DEP_3) | instskip(SKIP_1) | instid1(VALU_DEP_1)
	v_and_or_b32 v5, 0x8000, v7, v6
	v_and_b32_e32 v4, 0xffff, v4
	v_lshl_or_b32 v4, v5, 16, v4
	global_store_b32 v[2:3], v4, off
	global_load_b32 v6, v31, s[8:9] offset:972
	ds_load_2addr_b32 v[4:5], v1 offset0:115 offset1:142
	s_wait_dscnt 0x0
	v_lshrrev_b32_e32 v1, 16, v4
	s_wait_loadcnt 0x0
	v_lshrrev_b32_e32 v7, 16, v6
	s_delay_alu instid0(VALU_DEP_1) | instskip(SKIP_1) | instid1(VALU_DEP_2)
	v_mul_f16_e32 v8, v1, v7
	v_mul_f16_e32 v7, v4, v7
	v_fmac_f16_e32 v8, v4, v6
	s_delay_alu instid0(VALU_DEP_2) | instskip(NEXT) | instid1(VALU_DEP_2)
	v_fma_f16 v1, v6, v1, -v7
	v_cvt_f32_f16_e32 v4, v8
	s_delay_alu instid0(VALU_DEP_2) | instskip(NEXT) | instid1(VALU_DEP_2)
	v_cvt_f32_f16_e32 v1, v1
	v_cvt_f64_f32_e32 v[6:7], v4
	s_delay_alu instid0(VALU_DEP_2) | instskip(NEXT) | instid1(VALU_DEP_2)
	v_cvt_f64_f32_e32 v[8:9], v1
	v_mul_f64_e32 v[6:7], s[10:11], v[6:7]
	s_delay_alu instid0(VALU_DEP_2) | instskip(NEXT) | instid1(VALU_DEP_2)
	v_mul_f64_e32 v[8:9], s[10:11], v[8:9]
	v_and_or_b32 v1, 0x1ff, v7, v6
	s_delay_alu instid0(VALU_DEP_2)
	v_and_or_b32 v8, 0x1ff, v9, v8
	v_lshrrev_b32_e32 v4, 8, v7
	v_bfe_u32 v6, v7, 20, 11
	v_lshrrev_b32_e32 v10, 8, v9
	v_cmp_ne_u32_e32 vcc_lo, 0, v1
	v_bfe_u32 v11, v9, 20, 11
	v_lshrrev_b32_e32 v7, 16, v7
	v_sub_nc_u32_e32 v12, 0x3f1, v6
	v_add_nc_u32_e32 v6, 0xfffffc10, v6
	s_wait_alu 0xfffd
	v_cndmask_b32_e64 v1, 0, 1, vcc_lo
	v_cmp_ne_u32_e32 vcc_lo, 0, v8
	s_delay_alu instid0(VALU_DEP_2) | instskip(SKIP_4) | instid1(VALU_DEP_3)
	v_and_or_b32 v1, 0xffe, v4, v1
	s_wait_alu 0xfffd
	v_cndmask_b32_e64 v8, 0, 1, vcc_lo
	v_sub_nc_u32_e32 v4, 0x3f1, v11
	v_add_nc_u32_e32 v11, 0xfffffc10, v11
	v_and_or_b32 v8, 0xffe, v10, v8
	v_med3_i32 v10, v12, 0, 13
	v_or_b32_e32 v12, 0x1000, v1
	v_med3_i32 v4, v4, 0, 13
	s_delay_alu instid0(VALU_DEP_4) | instskip(NEXT) | instid1(VALU_DEP_3)
	v_or_b32_e32 v13, 0x1000, v8
	v_lshrrev_b32_e32 v14, v10, v12
	s_delay_alu instid0(VALU_DEP_2) | instskip(NEXT) | instid1(VALU_DEP_2)
	v_lshrrev_b32_e32 v15, v4, v13
	v_lshlrev_b32_e32 v10, v10, v14
	s_delay_alu instid0(VALU_DEP_2) | instskip(NEXT) | instid1(VALU_DEP_2)
	v_lshlrev_b32_e32 v4, v4, v15
	v_cmp_ne_u32_e32 vcc_lo, v10, v12
	v_lshl_or_b32 v12, v6, 12, v1
	s_wait_alu 0xfffd
	v_cndmask_b32_e64 v10, 0, 1, vcc_lo
	v_cmp_ne_u32_e32 vcc_lo, v4, v13
	v_lshl_or_b32 v13, v11, 12, v8
	s_delay_alu instid0(VALU_DEP_3) | instskip(SKIP_3) | instid1(VALU_DEP_2)
	v_or_b32_e32 v10, v14, v10
	s_wait_alu 0xfffd
	v_cndmask_b32_e64 v4, 0, 1, vcc_lo
	v_cmp_gt_i32_e32 vcc_lo, 1, v6
	v_or_b32_e32 v4, v15, v4
	s_wait_alu 0xfffd
	v_cndmask_b32_e32 v10, v12, v10, vcc_lo
	v_cmp_gt_i32_e32 vcc_lo, 1, v11
	s_delay_alu instid0(VALU_DEP_2)
	v_and_b32_e32 v12, 7, v10
	s_wait_alu 0xfffd
	v_cndmask_b32_e32 v4, v13, v4, vcc_lo
	v_cmp_ne_u32_e32 vcc_lo, 0, v1
	v_lshrrev_b32_e32 v10, 2, v10
	v_cmp_eq_u32_e64 s0, 3, v12
	s_delay_alu instid0(VALU_DEP_4)
	v_and_b32_e32 v13, 7, v4
	s_wait_alu 0xfffd
	v_cndmask_b32_e64 v1, 0, 1, vcc_lo
	v_cmp_ne_u32_e32 vcc_lo, 0, v8
	v_lshrrev_b32_e32 v4, 2, v4
	v_cmp_lt_i32_e64 s1, 5, v13
	v_cmp_eq_u32_e64 s2, 3, v13
	s_wait_alu 0xfffd
	v_cndmask_b32_e64 v8, 0, 1, vcc_lo
	v_cmp_lt_i32_e32 vcc_lo, 5, v12
	v_lshl_or_b32 v1, v1, 9, 0x7c00
	s_delay_alu instid0(VALU_DEP_3)
	v_lshl_or_b32 v8, v8, 9, 0x7c00
	s_or_b32 vcc_lo, s0, vcc_lo
	s_wait_alu 0xfffe
	v_add_co_ci_u32_e32 v10, vcc_lo, 0, v10, vcc_lo
	s_or_b32 vcc_lo, s2, s1
	s_wait_alu 0xfffe
	v_add_co_ci_u32_e32 v4, vcc_lo, 0, v4, vcc_lo
	v_cmp_gt_i32_e32 vcc_lo, 31, v6
	s_wait_alu 0xfffd
	v_cndmask_b32_e32 v10, 0x7c00, v10, vcc_lo
	v_cmp_gt_i32_e32 vcc_lo, 31, v11
	s_wait_alu 0xfffd
	v_cndmask_b32_e32 v4, 0x7c00, v4, vcc_lo
	v_cmp_eq_u32_e32 vcc_lo, 0x40f, v6
	v_lshrrev_b32_e32 v6, 16, v9
	s_wait_alu 0xfffd
	v_cndmask_b32_e32 v1, v10, v1, vcc_lo
	v_cmp_eq_u32_e32 vcc_lo, 0x40f, v11
	s_delay_alu instid0(VALU_DEP_2) | instskip(SKIP_2) | instid1(VALU_DEP_1)
	v_and_or_b32 v1, 0x8000, v7, v1
	s_wait_alu 0xfffd
	v_cndmask_b32_e32 v4, v4, v8, vcc_lo
	v_and_or_b32 v4, 0x8000, v6, v4
	s_delay_alu instid0(VALU_DEP_3) | instskip(SKIP_3) | instid1(VALU_DEP_3)
	v_and_b32_e32 v6, 0xffff, v1
	v_add_co_u32 v1, vcc_lo, v2, s4
	s_wait_alu 0xfffd
	v_add_co_ci_u32_e32 v2, vcc_lo, s5, v3, vcc_lo
	v_lshl_or_b32 v3, v4, 16, v6
	v_lshrrev_b32_e32 v4, 16, v5
	global_store_b32 v[1:2], v3, off
	global_load_b32 v3, v31, s[8:9] offset:1080
	s_wait_loadcnt 0x0
	v_lshrrev_b32_e32 v6, 16, v3
	s_delay_alu instid0(VALU_DEP_1) | instskip(SKIP_1) | instid1(VALU_DEP_2)
	v_mul_f16_e32 v7, v4, v6
	v_mul_f16_e32 v6, v5, v6
	v_fmac_f16_e32 v7, v5, v3
	s_delay_alu instid0(VALU_DEP_2) | instskip(NEXT) | instid1(VALU_DEP_2)
	v_fma_f16 v3, v3, v4, -v6
	v_cvt_f32_f16_e32 v4, v7
	s_delay_alu instid0(VALU_DEP_2) | instskip(NEXT) | instid1(VALU_DEP_2)
	v_cvt_f32_f16_e32 v5, v3
	v_cvt_f64_f32_e32 v[3:4], v4
	s_delay_alu instid0(VALU_DEP_2) | instskip(NEXT) | instid1(VALU_DEP_2)
	v_cvt_f64_f32_e32 v[5:6], v5
	v_mul_f64_e32 v[3:4], s[10:11], v[3:4]
	s_delay_alu instid0(VALU_DEP_2) | instskip(NEXT) | instid1(VALU_DEP_2)
	v_mul_f64_e32 v[5:6], s[10:11], v[5:6]
	v_and_or_b32 v3, 0x1ff, v4, v3
	s_delay_alu instid0(VALU_DEP_2)
	v_and_or_b32 v5, 0x1ff, v6, v5
	v_lshrrev_b32_e32 v7, 8, v4
	v_bfe_u32 v8, v4, 20, 11
	v_lshrrev_b32_e32 v9, 8, v6
	v_cmp_ne_u32_e32 vcc_lo, 0, v3
	v_bfe_u32 v10, v6, 20, 11
	v_lshrrev_b32_e32 v4, 16, v4
	v_sub_nc_u32_e32 v11, 0x3f1, v8
	v_add_nc_u32_e32 v8, 0xfffffc10, v8
	s_wait_alu 0xfffd
	v_cndmask_b32_e64 v3, 0, 1, vcc_lo
	v_cmp_ne_u32_e32 vcc_lo, 0, v5
	v_lshrrev_b32_e32 v6, 16, v6
	s_delay_alu instid0(VALU_DEP_3) | instskip(SKIP_4) | instid1(VALU_DEP_3)
	v_and_or_b32 v3, 0xffe, v7, v3
	s_wait_alu 0xfffd
	v_cndmask_b32_e64 v5, 0, 1, vcc_lo
	v_sub_nc_u32_e32 v7, 0x3f1, v10
	v_add_nc_u32_e32 v10, 0xfffffc10, v10
	v_and_or_b32 v5, 0xffe, v9, v5
	v_med3_i32 v9, v11, 0, 13
	v_or_b32_e32 v11, 0x1000, v3
	v_med3_i32 v7, v7, 0, 13
	s_delay_alu instid0(VALU_DEP_4) | instskip(NEXT) | instid1(VALU_DEP_3)
	v_or_b32_e32 v12, 0x1000, v5
	v_lshrrev_b32_e32 v13, v9, v11
	s_delay_alu instid0(VALU_DEP_2) | instskip(NEXT) | instid1(VALU_DEP_2)
	v_lshrrev_b32_e32 v14, v7, v12
	v_lshlrev_b32_e32 v9, v9, v13
	s_delay_alu instid0(VALU_DEP_2) | instskip(NEXT) | instid1(VALU_DEP_2)
	v_lshlrev_b32_e32 v7, v7, v14
	v_cmp_ne_u32_e32 vcc_lo, v9, v11
	v_lshl_or_b32 v11, v8, 12, v3
	s_wait_alu 0xfffd
	v_cndmask_b32_e64 v9, 0, 1, vcc_lo
	v_cmp_ne_u32_e32 vcc_lo, v7, v12
	v_lshl_or_b32 v12, v10, 12, v5
	s_delay_alu instid0(VALU_DEP_3) | instskip(SKIP_3) | instid1(VALU_DEP_2)
	v_or_b32_e32 v9, v13, v9
	s_wait_alu 0xfffd
	v_cndmask_b32_e64 v7, 0, 1, vcc_lo
	v_cmp_gt_i32_e32 vcc_lo, 1, v8
	v_or_b32_e32 v7, v14, v7
	s_wait_alu 0xfffd
	v_cndmask_b32_e32 v9, v11, v9, vcc_lo
	v_cmp_gt_i32_e32 vcc_lo, 1, v10
	s_delay_alu instid0(VALU_DEP_2)
	v_and_b32_e32 v11, 7, v9
	s_wait_alu 0xfffd
	v_cndmask_b32_e32 v7, v12, v7, vcc_lo
	v_cmp_ne_u32_e32 vcc_lo, 0, v3
	v_lshrrev_b32_e32 v9, 2, v9
	v_cmp_eq_u32_e64 s0, 3, v11
	s_delay_alu instid0(VALU_DEP_4)
	v_and_b32_e32 v12, 7, v7
	s_wait_alu 0xfffd
	v_cndmask_b32_e64 v3, 0, 1, vcc_lo
	v_cmp_ne_u32_e32 vcc_lo, 0, v5
	v_lshrrev_b32_e32 v7, 2, v7
	v_cmp_lt_i32_e64 s1, 5, v12
	v_cmp_eq_u32_e64 s2, 3, v12
	s_wait_alu 0xfffd
	v_cndmask_b32_e64 v5, 0, 1, vcc_lo
	v_cmp_lt_i32_e32 vcc_lo, 5, v11
	v_lshl_or_b32 v3, v3, 9, 0x7c00
	s_delay_alu instid0(VALU_DEP_3)
	v_lshl_or_b32 v5, v5, 9, 0x7c00
	s_or_b32 vcc_lo, s0, vcc_lo
	s_wait_alu 0xfffe
	v_add_co_ci_u32_e32 v9, vcc_lo, 0, v9, vcc_lo
	s_or_b32 vcc_lo, s2, s1
	s_wait_alu 0xfffe
	v_add_co_ci_u32_e32 v7, vcc_lo, 0, v7, vcc_lo
	v_cmp_gt_i32_e32 vcc_lo, 31, v8
	s_wait_alu 0xfffd
	v_cndmask_b32_e32 v9, 0x7c00, v9, vcc_lo
	v_cmp_gt_i32_e32 vcc_lo, 31, v10
	s_wait_alu 0xfffd
	v_cndmask_b32_e32 v7, 0x7c00, v7, vcc_lo
	v_cmp_eq_u32_e32 vcc_lo, 0x40f, v8
	s_wait_alu 0xfffd
	v_cndmask_b32_e32 v3, v9, v3, vcc_lo
	v_cmp_eq_u32_e32 vcc_lo, 0x40f, v10
	s_delay_alu instid0(VALU_DEP_2)
	v_and_or_b32 v3, 0x8000, v4, v3
	s_wait_alu 0xfffd
	v_cndmask_b32_e32 v5, v7, v5, vcc_lo
	v_add_co_u32 v1, vcc_lo, v1, s4
	s_wait_alu 0xfffd
	v_add_co_ci_u32_e32 v2, vcc_lo, s5, v2, vcc_lo
	s_delay_alu instid0(VALU_DEP_3) | instskip(SKIP_1) | instid1(VALU_DEP_1)
	v_and_or_b32 v4, 0x8000, v6, v5
	v_and_b32_e32 v3, 0xffff, v3
	v_lshl_or_b32 v3, v4, 16, v3
	global_store_b32 v[1:2], v3, off
	global_load_b32 v5, v31, s[8:9] offset:1188
	ds_load_2addr_b32 v[3:4], v0 offset0:41 offset1:68
	s_wait_dscnt 0x0
	v_lshrrev_b32_e32 v6, 16, v3
	s_wait_loadcnt 0x0
	v_lshrrev_b32_e32 v7, 16, v5
	s_delay_alu instid0(VALU_DEP_1) | instskip(SKIP_1) | instid1(VALU_DEP_2)
	v_mul_f16_e32 v8, v6, v7
	v_mul_f16_e32 v7, v3, v7
	v_fmac_f16_e32 v8, v3, v5
	s_delay_alu instid0(VALU_DEP_2) | instskip(NEXT) | instid1(VALU_DEP_2)
	v_fma_f16 v3, v5, v6, -v7
	v_cvt_f32_f16_e32 v5, v8
	s_delay_alu instid0(VALU_DEP_2) | instskip(NEXT) | instid1(VALU_DEP_2)
	v_cvt_f32_f16_e32 v3, v3
	v_cvt_f64_f32_e32 v[5:6], v5
	s_delay_alu instid0(VALU_DEP_2) | instskip(NEXT) | instid1(VALU_DEP_2)
	v_cvt_f64_f32_e32 v[7:8], v3
	v_mul_f64_e32 v[5:6], s[10:11], v[5:6]
	s_delay_alu instid0(VALU_DEP_2) | instskip(NEXT) | instid1(VALU_DEP_2)
	v_mul_f64_e32 v[7:8], s[10:11], v[7:8]
	v_and_or_b32 v3, 0x1ff, v6, v5
	s_delay_alu instid0(VALU_DEP_2)
	v_and_or_b32 v7, 0x1ff, v8, v7
	v_lshrrev_b32_e32 v5, 8, v6
	v_bfe_u32 v9, v6, 20, 11
	v_lshrrev_b32_e32 v10, 8, v8
	v_cmp_ne_u32_e32 vcc_lo, 0, v3
	v_bfe_u32 v11, v8, 20, 11
	v_lshrrev_b32_e32 v6, 16, v6
	v_sub_nc_u32_e32 v12, 0x3f1, v9
	v_add_nc_u32_e32 v9, 0xfffffc10, v9
	s_wait_alu 0xfffd
	v_cndmask_b32_e64 v3, 0, 1, vcc_lo
	v_cmp_ne_u32_e32 vcc_lo, 0, v7
	v_lshrrev_b32_e32 v8, 16, v8
	s_delay_alu instid0(VALU_DEP_3) | instskip(SKIP_4) | instid1(VALU_DEP_3)
	v_and_or_b32 v3, 0xffe, v5, v3
	s_wait_alu 0xfffd
	v_cndmask_b32_e64 v7, 0, 1, vcc_lo
	v_sub_nc_u32_e32 v5, 0x3f1, v11
	v_add_nc_u32_e32 v11, 0xfffffc10, v11
	v_and_or_b32 v7, 0xffe, v10, v7
	v_med3_i32 v10, v12, 0, 13
	v_or_b32_e32 v12, 0x1000, v3
	v_med3_i32 v5, v5, 0, 13
	s_delay_alu instid0(VALU_DEP_4) | instskip(NEXT) | instid1(VALU_DEP_3)
	v_or_b32_e32 v13, 0x1000, v7
	v_lshrrev_b32_e32 v14, v10, v12
	s_delay_alu instid0(VALU_DEP_2) | instskip(NEXT) | instid1(VALU_DEP_2)
	v_lshrrev_b32_e32 v15, v5, v13
	v_lshlrev_b32_e32 v10, v10, v14
	s_delay_alu instid0(VALU_DEP_2) | instskip(NEXT) | instid1(VALU_DEP_2)
	v_lshlrev_b32_e32 v5, v5, v15
	v_cmp_ne_u32_e32 vcc_lo, v10, v12
	v_lshl_or_b32 v12, v9, 12, v3
	s_wait_alu 0xfffd
	v_cndmask_b32_e64 v10, 0, 1, vcc_lo
	v_cmp_ne_u32_e32 vcc_lo, v5, v13
	v_lshl_or_b32 v13, v11, 12, v7
	s_delay_alu instid0(VALU_DEP_3) | instskip(SKIP_3) | instid1(VALU_DEP_2)
	v_or_b32_e32 v10, v14, v10
	s_wait_alu 0xfffd
	v_cndmask_b32_e64 v5, 0, 1, vcc_lo
	v_cmp_gt_i32_e32 vcc_lo, 1, v9
	v_or_b32_e32 v5, v15, v5
	s_wait_alu 0xfffd
	v_cndmask_b32_e32 v10, v12, v10, vcc_lo
	v_cmp_gt_i32_e32 vcc_lo, 1, v11
	s_wait_alu 0xfffd
	s_delay_alu instid0(VALU_DEP_2) | instskip(SKIP_2) | instid1(VALU_DEP_3)
	v_dual_cndmask_b32 v5, v13, v5 :: v_dual_and_b32 v12, 7, v10
	v_cmp_ne_u32_e32 vcc_lo, 0, v3
	v_lshrrev_b32_e32 v10, 2, v10
	v_cmp_eq_u32_e64 s0, 3, v12
	s_delay_alu instid0(VALU_DEP_4)
	v_and_b32_e32 v13, 7, v5
	s_wait_alu 0xfffd
	v_cndmask_b32_e64 v3, 0, 1, vcc_lo
	v_cmp_ne_u32_e32 vcc_lo, 0, v7
	v_lshrrev_b32_e32 v5, 2, v5
	v_cmp_lt_i32_e64 s1, 5, v13
	v_cmp_eq_u32_e64 s2, 3, v13
	s_wait_alu 0xfffd
	v_cndmask_b32_e64 v7, 0, 1, vcc_lo
	v_cmp_lt_i32_e32 vcc_lo, 5, v12
	v_lshl_or_b32 v3, v3, 9, 0x7c00
	s_delay_alu instid0(VALU_DEP_3)
	v_lshl_or_b32 v7, v7, 9, 0x7c00
	s_or_b32 vcc_lo, s0, vcc_lo
	s_wait_alu 0xfffe
	v_add_co_ci_u32_e32 v10, vcc_lo, 0, v10, vcc_lo
	s_or_b32 vcc_lo, s2, s1
	s_wait_alu 0xfffe
	v_add_co_ci_u32_e32 v5, vcc_lo, 0, v5, vcc_lo
	v_cmp_gt_i32_e32 vcc_lo, 31, v9
	s_wait_alu 0xfffd
	v_cndmask_b32_e32 v10, 0x7c00, v10, vcc_lo
	v_cmp_gt_i32_e32 vcc_lo, 31, v11
	s_wait_alu 0xfffd
	v_cndmask_b32_e32 v5, 0x7c00, v5, vcc_lo
	v_cmp_eq_u32_e32 vcc_lo, 0x40f, v9
	s_wait_alu 0xfffd
	v_cndmask_b32_e32 v3, v10, v3, vcc_lo
	v_cmp_eq_u32_e32 vcc_lo, 0x40f, v11
	s_delay_alu instid0(VALU_DEP_2)
	v_and_or_b32 v3, 0x8000, v6, v3
	s_wait_alu 0xfffd
	v_cndmask_b32_e32 v5, v5, v7, vcc_lo
	v_add_co_u32 v1, vcc_lo, v1, s4
	s_wait_alu 0xfffd
	v_add_co_ci_u32_e32 v2, vcc_lo, s5, v2, vcc_lo
	s_delay_alu instid0(VALU_DEP_3) | instskip(SKIP_1) | instid1(VALU_DEP_1)
	v_and_or_b32 v5, 0x8000, v8, v5
	v_and_b32_e32 v3, 0xffff, v3
	v_lshl_or_b32 v3, v5, 16, v3
	v_lshrrev_b32_e32 v5, 16, v4
	global_store_b32 v[1:2], v3, off
	global_load_b32 v3, v31, s[8:9] offset:1296
	s_wait_loadcnt 0x0
	v_lshrrev_b32_e32 v6, 16, v3
	s_delay_alu instid0(VALU_DEP_1) | instskip(SKIP_1) | instid1(VALU_DEP_2)
	v_mul_f16_e32 v7, v5, v6
	v_mul_f16_e32 v6, v4, v6
	v_fmac_f16_e32 v7, v4, v3
	s_delay_alu instid0(VALU_DEP_2) | instskip(NEXT) | instid1(VALU_DEP_2)
	v_fma_f16 v3, v3, v5, -v6
	v_cvt_f32_f16_e32 v4, v7
	s_delay_alu instid0(VALU_DEP_2) | instskip(NEXT) | instid1(VALU_DEP_2)
	v_cvt_f32_f16_e32 v5, v3
	v_cvt_f64_f32_e32 v[3:4], v4
	s_delay_alu instid0(VALU_DEP_2) | instskip(NEXT) | instid1(VALU_DEP_2)
	v_cvt_f64_f32_e32 v[5:6], v5
	v_mul_f64_e32 v[3:4], s[10:11], v[3:4]
	s_delay_alu instid0(VALU_DEP_2) | instskip(NEXT) | instid1(VALU_DEP_2)
	v_mul_f64_e32 v[5:6], s[10:11], v[5:6]
	v_and_or_b32 v3, 0x1ff, v4, v3
	s_delay_alu instid0(VALU_DEP_2)
	v_and_or_b32 v5, 0x1ff, v6, v5
	v_lshrrev_b32_e32 v7, 8, v4
	v_bfe_u32 v8, v4, 20, 11
	v_lshrrev_b32_e32 v9, 8, v6
	v_cmp_ne_u32_e32 vcc_lo, 0, v3
	v_bfe_u32 v10, v6, 20, 11
	v_lshrrev_b32_e32 v4, 16, v4
	v_sub_nc_u32_e32 v11, 0x3f1, v8
	v_add_nc_u32_e32 v8, 0xfffffc10, v8
	s_wait_alu 0xfffd
	v_cndmask_b32_e64 v3, 0, 1, vcc_lo
	v_cmp_ne_u32_e32 vcc_lo, 0, v5
	v_lshrrev_b32_e32 v6, 16, v6
	s_delay_alu instid0(VALU_DEP_3) | instskip(SKIP_4) | instid1(VALU_DEP_3)
	v_and_or_b32 v3, 0xffe, v7, v3
	s_wait_alu 0xfffd
	v_cndmask_b32_e64 v5, 0, 1, vcc_lo
	v_sub_nc_u32_e32 v7, 0x3f1, v10
	v_add_nc_u32_e32 v10, 0xfffffc10, v10
	v_and_or_b32 v5, 0xffe, v9, v5
	v_med3_i32 v9, v11, 0, 13
	v_or_b32_e32 v11, 0x1000, v3
	v_med3_i32 v7, v7, 0, 13
	s_delay_alu instid0(VALU_DEP_4) | instskip(NEXT) | instid1(VALU_DEP_3)
	v_or_b32_e32 v12, 0x1000, v5
	v_lshrrev_b32_e32 v13, v9, v11
	s_delay_alu instid0(VALU_DEP_2) | instskip(NEXT) | instid1(VALU_DEP_2)
	v_lshrrev_b32_e32 v14, v7, v12
	v_lshlrev_b32_e32 v9, v9, v13
	s_delay_alu instid0(VALU_DEP_2) | instskip(NEXT) | instid1(VALU_DEP_2)
	v_lshlrev_b32_e32 v7, v7, v14
	v_cmp_ne_u32_e32 vcc_lo, v9, v11
	v_lshl_or_b32 v11, v8, 12, v3
	s_wait_alu 0xfffd
	v_cndmask_b32_e64 v9, 0, 1, vcc_lo
	v_cmp_ne_u32_e32 vcc_lo, v7, v12
	v_lshl_or_b32 v12, v10, 12, v5
	s_delay_alu instid0(VALU_DEP_3) | instskip(SKIP_3) | instid1(VALU_DEP_2)
	v_or_b32_e32 v9, v13, v9
	s_wait_alu 0xfffd
	v_cndmask_b32_e64 v7, 0, 1, vcc_lo
	v_cmp_gt_i32_e32 vcc_lo, 1, v8
	v_or_b32_e32 v7, v14, v7
	s_wait_alu 0xfffd
	v_cndmask_b32_e32 v9, v11, v9, vcc_lo
	v_cmp_gt_i32_e32 vcc_lo, 1, v10
	s_delay_alu instid0(VALU_DEP_2)
	v_and_b32_e32 v11, 7, v9
	s_wait_alu 0xfffd
	v_cndmask_b32_e32 v7, v12, v7, vcc_lo
	v_cmp_ne_u32_e32 vcc_lo, 0, v3
	v_lshrrev_b32_e32 v9, 2, v9
	v_cmp_eq_u32_e64 s0, 3, v11
	s_delay_alu instid0(VALU_DEP_4)
	v_and_b32_e32 v12, 7, v7
	s_wait_alu 0xfffd
	v_cndmask_b32_e64 v3, 0, 1, vcc_lo
	v_cmp_ne_u32_e32 vcc_lo, 0, v5
	v_lshrrev_b32_e32 v7, 2, v7
	v_cmp_lt_i32_e64 s1, 5, v12
	v_cmp_eq_u32_e64 s2, 3, v12
	s_wait_alu 0xfffd
	v_cndmask_b32_e64 v5, 0, 1, vcc_lo
	v_cmp_lt_i32_e32 vcc_lo, 5, v11
	v_lshl_or_b32 v3, v3, 9, 0x7c00
	s_delay_alu instid0(VALU_DEP_3)
	v_lshl_or_b32 v5, v5, 9, 0x7c00
	s_or_b32 vcc_lo, s0, vcc_lo
	s_wait_alu 0xfffe
	v_add_co_ci_u32_e32 v9, vcc_lo, 0, v9, vcc_lo
	s_or_b32 vcc_lo, s2, s1
	s_wait_alu 0xfffe
	v_add_co_ci_u32_e32 v7, vcc_lo, 0, v7, vcc_lo
	v_cmp_gt_i32_e32 vcc_lo, 31, v8
	s_wait_alu 0xfffd
	v_cndmask_b32_e32 v9, 0x7c00, v9, vcc_lo
	v_cmp_gt_i32_e32 vcc_lo, 31, v10
	s_wait_alu 0xfffd
	v_cndmask_b32_e32 v7, 0x7c00, v7, vcc_lo
	v_cmp_eq_u32_e32 vcc_lo, 0x40f, v8
	s_wait_alu 0xfffd
	v_cndmask_b32_e32 v3, v9, v3, vcc_lo
	v_cmp_eq_u32_e32 vcc_lo, 0x40f, v10
	s_delay_alu instid0(VALU_DEP_2)
	v_and_or_b32 v3, 0x8000, v4, v3
	s_wait_alu 0xfffd
	v_cndmask_b32_e32 v5, v7, v5, vcc_lo
	v_add_co_u32 v1, vcc_lo, v1, s4
	s_wait_alu 0xfffd
	v_add_co_ci_u32_e32 v2, vcc_lo, s5, v2, vcc_lo
	s_delay_alu instid0(VALU_DEP_3) | instskip(SKIP_1) | instid1(VALU_DEP_1)
	v_and_or_b32 v4, 0x8000, v6, v5
	v_and_b32_e32 v3, 0xffff, v3
	v_lshl_or_b32 v3, v4, 16, v3
	global_store_b32 v[1:2], v3, off
	global_load_b32 v5, v31, s[8:9] offset:1404
	ds_load_2addr_b32 v[3:4], v0 offset0:95 offset1:122
	s_wait_dscnt 0x0
	v_lshrrev_b32_e32 v6, 16, v3
	s_wait_loadcnt 0x0
	v_lshrrev_b32_e32 v7, 16, v5
	s_delay_alu instid0(VALU_DEP_1) | instskip(SKIP_1) | instid1(VALU_DEP_2)
	v_mul_f16_e32 v8, v6, v7
	v_mul_f16_e32 v7, v3, v7
	v_fmac_f16_e32 v8, v3, v5
	s_delay_alu instid0(VALU_DEP_2) | instskip(NEXT) | instid1(VALU_DEP_2)
	v_fma_f16 v3, v5, v6, -v7
	v_cvt_f32_f16_e32 v5, v8
	s_delay_alu instid0(VALU_DEP_2) | instskip(NEXT) | instid1(VALU_DEP_2)
	v_cvt_f32_f16_e32 v3, v3
	v_cvt_f64_f32_e32 v[5:6], v5
	s_delay_alu instid0(VALU_DEP_2) | instskip(NEXT) | instid1(VALU_DEP_2)
	v_cvt_f64_f32_e32 v[7:8], v3
	v_mul_f64_e32 v[5:6], s[10:11], v[5:6]
	s_delay_alu instid0(VALU_DEP_2) | instskip(NEXT) | instid1(VALU_DEP_2)
	v_mul_f64_e32 v[7:8], s[10:11], v[7:8]
	v_and_or_b32 v3, 0x1ff, v6, v5
	s_delay_alu instid0(VALU_DEP_2)
	v_and_or_b32 v7, 0x1ff, v8, v7
	v_lshrrev_b32_e32 v5, 8, v6
	v_bfe_u32 v9, v6, 20, 11
	v_lshrrev_b32_e32 v10, 8, v8
	v_cmp_ne_u32_e32 vcc_lo, 0, v3
	v_bfe_u32 v11, v8, 20, 11
	v_lshrrev_b32_e32 v6, 16, v6
	v_sub_nc_u32_e32 v12, 0x3f1, v9
	v_add_nc_u32_e32 v9, 0xfffffc10, v9
	s_wait_alu 0xfffd
	v_cndmask_b32_e64 v3, 0, 1, vcc_lo
	v_cmp_ne_u32_e32 vcc_lo, 0, v7
	v_lshrrev_b32_e32 v8, 16, v8
	s_delay_alu instid0(VALU_DEP_3) | instskip(SKIP_4) | instid1(VALU_DEP_3)
	v_and_or_b32 v3, 0xffe, v5, v3
	s_wait_alu 0xfffd
	v_cndmask_b32_e64 v7, 0, 1, vcc_lo
	v_sub_nc_u32_e32 v5, 0x3f1, v11
	v_add_nc_u32_e32 v11, 0xfffffc10, v11
	v_and_or_b32 v7, 0xffe, v10, v7
	v_med3_i32 v10, v12, 0, 13
	v_or_b32_e32 v12, 0x1000, v3
	v_med3_i32 v5, v5, 0, 13
	s_delay_alu instid0(VALU_DEP_4) | instskip(NEXT) | instid1(VALU_DEP_3)
	v_or_b32_e32 v13, 0x1000, v7
	v_lshrrev_b32_e32 v14, v10, v12
	s_delay_alu instid0(VALU_DEP_2) | instskip(NEXT) | instid1(VALU_DEP_2)
	v_lshrrev_b32_e32 v15, v5, v13
	v_lshlrev_b32_e32 v10, v10, v14
	s_delay_alu instid0(VALU_DEP_2) | instskip(NEXT) | instid1(VALU_DEP_2)
	v_lshlrev_b32_e32 v5, v5, v15
	v_cmp_ne_u32_e32 vcc_lo, v10, v12
	v_lshl_or_b32 v12, v9, 12, v3
	s_wait_alu 0xfffd
	v_cndmask_b32_e64 v10, 0, 1, vcc_lo
	v_cmp_ne_u32_e32 vcc_lo, v5, v13
	v_lshl_or_b32 v13, v11, 12, v7
	s_delay_alu instid0(VALU_DEP_3) | instskip(SKIP_3) | instid1(VALU_DEP_2)
	v_or_b32_e32 v10, v14, v10
	s_wait_alu 0xfffd
	v_cndmask_b32_e64 v5, 0, 1, vcc_lo
	v_cmp_gt_i32_e32 vcc_lo, 1, v9
	v_or_b32_e32 v5, v15, v5
	s_wait_alu 0xfffd
	v_cndmask_b32_e32 v10, v12, v10, vcc_lo
	v_cmp_gt_i32_e32 vcc_lo, 1, v11
	s_wait_alu 0xfffd
	s_delay_alu instid0(VALU_DEP_2) | instskip(SKIP_2) | instid1(VALU_DEP_3)
	v_dual_cndmask_b32 v5, v13, v5 :: v_dual_and_b32 v12, 7, v10
	v_cmp_ne_u32_e32 vcc_lo, 0, v3
	v_lshrrev_b32_e32 v10, 2, v10
	v_cmp_eq_u32_e64 s0, 3, v12
	s_delay_alu instid0(VALU_DEP_4)
	v_and_b32_e32 v13, 7, v5
	s_wait_alu 0xfffd
	v_cndmask_b32_e64 v3, 0, 1, vcc_lo
	v_cmp_ne_u32_e32 vcc_lo, 0, v7
	v_lshrrev_b32_e32 v5, 2, v5
	v_cmp_lt_i32_e64 s1, 5, v13
	v_cmp_eq_u32_e64 s2, 3, v13
	s_wait_alu 0xfffd
	v_cndmask_b32_e64 v7, 0, 1, vcc_lo
	v_cmp_lt_i32_e32 vcc_lo, 5, v12
	v_lshl_or_b32 v3, v3, 9, 0x7c00
	s_delay_alu instid0(VALU_DEP_3)
	v_lshl_or_b32 v7, v7, 9, 0x7c00
	s_or_b32 vcc_lo, s0, vcc_lo
	s_wait_alu 0xfffe
	v_add_co_ci_u32_e32 v10, vcc_lo, 0, v10, vcc_lo
	s_or_b32 vcc_lo, s2, s1
	s_wait_alu 0xfffe
	v_add_co_ci_u32_e32 v5, vcc_lo, 0, v5, vcc_lo
	v_cmp_gt_i32_e32 vcc_lo, 31, v9
	s_wait_alu 0xfffd
	v_cndmask_b32_e32 v10, 0x7c00, v10, vcc_lo
	v_cmp_gt_i32_e32 vcc_lo, 31, v11
	s_wait_alu 0xfffd
	v_cndmask_b32_e32 v5, 0x7c00, v5, vcc_lo
	v_cmp_eq_u32_e32 vcc_lo, 0x40f, v9
	s_wait_alu 0xfffd
	v_cndmask_b32_e32 v3, v10, v3, vcc_lo
	v_cmp_eq_u32_e32 vcc_lo, 0x40f, v11
	s_delay_alu instid0(VALU_DEP_2)
	v_and_or_b32 v3, 0x8000, v6, v3
	s_wait_alu 0xfffd
	v_cndmask_b32_e32 v5, v5, v7, vcc_lo
	v_add_co_u32 v1, vcc_lo, v1, s4
	s_wait_alu 0xfffd
	v_add_co_ci_u32_e32 v2, vcc_lo, s5, v2, vcc_lo
	s_delay_alu instid0(VALU_DEP_3) | instskip(SKIP_1) | instid1(VALU_DEP_1)
	v_and_or_b32 v5, 0x8000, v8, v5
	v_and_b32_e32 v3, 0xffff, v3
	v_lshl_or_b32 v3, v5, 16, v3
	v_lshrrev_b32_e32 v5, 16, v4
	global_store_b32 v[1:2], v3, off
	global_load_b32 v3, v31, s[8:9] offset:1512
	s_wait_loadcnt 0x0
	v_lshrrev_b32_e32 v6, 16, v3
	s_delay_alu instid0(VALU_DEP_1) | instskip(SKIP_1) | instid1(VALU_DEP_2)
	v_mul_f16_e32 v7, v5, v6
	v_mul_f16_e32 v6, v4, v6
	v_fmac_f16_e32 v7, v4, v3
	s_delay_alu instid0(VALU_DEP_2) | instskip(NEXT) | instid1(VALU_DEP_2)
	v_fma_f16 v3, v3, v5, -v6
	v_cvt_f32_f16_e32 v4, v7
	s_delay_alu instid0(VALU_DEP_2) | instskip(NEXT) | instid1(VALU_DEP_2)
	v_cvt_f32_f16_e32 v5, v3
	v_cvt_f64_f32_e32 v[3:4], v4
	s_delay_alu instid0(VALU_DEP_2) | instskip(NEXT) | instid1(VALU_DEP_2)
	v_cvt_f64_f32_e32 v[5:6], v5
	v_mul_f64_e32 v[3:4], s[10:11], v[3:4]
	s_delay_alu instid0(VALU_DEP_2) | instskip(NEXT) | instid1(VALU_DEP_2)
	v_mul_f64_e32 v[5:6], s[10:11], v[5:6]
	v_and_or_b32 v3, 0x1ff, v4, v3
	s_delay_alu instid0(VALU_DEP_2)
	v_and_or_b32 v5, 0x1ff, v6, v5
	v_lshrrev_b32_e32 v7, 8, v4
	v_bfe_u32 v8, v4, 20, 11
	v_lshrrev_b32_e32 v9, 8, v6
	v_cmp_ne_u32_e32 vcc_lo, 0, v3
	v_bfe_u32 v10, v6, 20, 11
	v_lshrrev_b32_e32 v4, 16, v4
	v_sub_nc_u32_e32 v11, 0x3f1, v8
	v_add_nc_u32_e32 v8, 0xfffffc10, v8
	s_wait_alu 0xfffd
	v_cndmask_b32_e64 v3, 0, 1, vcc_lo
	v_cmp_ne_u32_e32 vcc_lo, 0, v5
	v_lshrrev_b32_e32 v6, 16, v6
	s_delay_alu instid0(VALU_DEP_3) | instskip(SKIP_4) | instid1(VALU_DEP_3)
	v_and_or_b32 v3, 0xffe, v7, v3
	s_wait_alu 0xfffd
	v_cndmask_b32_e64 v5, 0, 1, vcc_lo
	v_sub_nc_u32_e32 v7, 0x3f1, v10
	v_add_nc_u32_e32 v10, 0xfffffc10, v10
	v_and_or_b32 v5, 0xffe, v9, v5
	v_med3_i32 v9, v11, 0, 13
	v_or_b32_e32 v11, 0x1000, v3
	v_med3_i32 v7, v7, 0, 13
	s_delay_alu instid0(VALU_DEP_4) | instskip(NEXT) | instid1(VALU_DEP_3)
	v_or_b32_e32 v12, 0x1000, v5
	v_lshrrev_b32_e32 v13, v9, v11
	s_delay_alu instid0(VALU_DEP_2) | instskip(NEXT) | instid1(VALU_DEP_2)
	v_lshrrev_b32_e32 v14, v7, v12
	v_lshlrev_b32_e32 v9, v9, v13
	s_delay_alu instid0(VALU_DEP_2) | instskip(NEXT) | instid1(VALU_DEP_2)
	v_lshlrev_b32_e32 v7, v7, v14
	v_cmp_ne_u32_e32 vcc_lo, v9, v11
	v_lshl_or_b32 v11, v8, 12, v3
	s_wait_alu 0xfffd
	v_cndmask_b32_e64 v9, 0, 1, vcc_lo
	v_cmp_ne_u32_e32 vcc_lo, v7, v12
	v_lshl_or_b32 v12, v10, 12, v5
	s_delay_alu instid0(VALU_DEP_3) | instskip(SKIP_3) | instid1(VALU_DEP_2)
	v_or_b32_e32 v9, v13, v9
	s_wait_alu 0xfffd
	v_cndmask_b32_e64 v7, 0, 1, vcc_lo
	v_cmp_gt_i32_e32 vcc_lo, 1, v8
	v_or_b32_e32 v7, v14, v7
	s_wait_alu 0xfffd
	v_cndmask_b32_e32 v9, v11, v9, vcc_lo
	v_cmp_gt_i32_e32 vcc_lo, 1, v10
	s_delay_alu instid0(VALU_DEP_2)
	v_and_b32_e32 v11, 7, v9
	s_wait_alu 0xfffd
	v_cndmask_b32_e32 v7, v12, v7, vcc_lo
	v_cmp_ne_u32_e32 vcc_lo, 0, v3
	v_lshrrev_b32_e32 v9, 2, v9
	v_cmp_eq_u32_e64 s0, 3, v11
	s_delay_alu instid0(VALU_DEP_4)
	v_and_b32_e32 v12, 7, v7
	s_wait_alu 0xfffd
	v_cndmask_b32_e64 v3, 0, 1, vcc_lo
	v_cmp_ne_u32_e32 vcc_lo, 0, v5
	v_lshrrev_b32_e32 v7, 2, v7
	v_cmp_lt_i32_e64 s1, 5, v12
	v_cmp_eq_u32_e64 s2, 3, v12
	s_wait_alu 0xfffd
	v_cndmask_b32_e64 v5, 0, 1, vcc_lo
	v_cmp_lt_i32_e32 vcc_lo, 5, v11
	v_lshl_or_b32 v3, v3, 9, 0x7c00
	s_delay_alu instid0(VALU_DEP_3)
	v_lshl_or_b32 v5, v5, 9, 0x7c00
	s_or_b32 vcc_lo, s0, vcc_lo
	s_wait_alu 0xfffe
	v_add_co_ci_u32_e32 v9, vcc_lo, 0, v9, vcc_lo
	s_or_b32 vcc_lo, s2, s1
	s_wait_alu 0xfffe
	v_add_co_ci_u32_e32 v7, vcc_lo, 0, v7, vcc_lo
	v_cmp_gt_i32_e32 vcc_lo, 31, v8
	s_wait_alu 0xfffd
	v_cndmask_b32_e32 v9, 0x7c00, v9, vcc_lo
	v_cmp_gt_i32_e32 vcc_lo, 31, v10
	s_wait_alu 0xfffd
	v_cndmask_b32_e32 v7, 0x7c00, v7, vcc_lo
	v_cmp_eq_u32_e32 vcc_lo, 0x40f, v8
	s_wait_alu 0xfffd
	v_cndmask_b32_e32 v3, v9, v3, vcc_lo
	v_cmp_eq_u32_e32 vcc_lo, 0x40f, v10
	s_delay_alu instid0(VALU_DEP_2)
	v_and_or_b32 v3, 0x8000, v4, v3
	s_wait_alu 0xfffd
	v_cndmask_b32_e32 v5, v7, v5, vcc_lo
	v_add_co_u32 v1, vcc_lo, v1, s4
	s_wait_alu 0xfffd
	v_add_co_ci_u32_e32 v2, vcc_lo, s5, v2, vcc_lo
	s_delay_alu instid0(VALU_DEP_3) | instskip(SKIP_1) | instid1(VALU_DEP_1)
	v_and_or_b32 v4, 0x8000, v6, v5
	v_and_b32_e32 v3, 0xffff, v3
	v_lshl_or_b32 v3, v4, 16, v3
	global_store_b32 v[1:2], v3, off
	global_load_b32 v5, v31, s[8:9] offset:1620
	ds_load_2addr_b32 v[3:4], v0 offset0:149 offset1:176
	s_wait_dscnt 0x0
	v_lshrrev_b32_e32 v0, 16, v3
	s_wait_loadcnt 0x0
	v_lshrrev_b32_e32 v6, 16, v5
	s_delay_alu instid0(VALU_DEP_1) | instskip(SKIP_1) | instid1(VALU_DEP_2)
	v_mul_f16_e32 v7, v0, v6
	v_mul_f16_e32 v6, v3, v6
	v_fmac_f16_e32 v7, v3, v5
	s_delay_alu instid0(VALU_DEP_2) | instskip(NEXT) | instid1(VALU_DEP_2)
	v_fma_f16 v0, v5, v0, -v6
	v_cvt_f32_f16_e32 v3, v7
	s_delay_alu instid0(VALU_DEP_2) | instskip(NEXT) | instid1(VALU_DEP_2)
	v_cvt_f32_f16_e32 v0, v0
	v_cvt_f64_f32_e32 v[5:6], v3
	s_delay_alu instid0(VALU_DEP_2) | instskip(NEXT) | instid1(VALU_DEP_2)
	v_cvt_f64_f32_e32 v[7:8], v0
	v_mul_f64_e32 v[5:6], s[10:11], v[5:6]
	s_delay_alu instid0(VALU_DEP_2) | instskip(NEXT) | instid1(VALU_DEP_2)
	v_mul_f64_e32 v[7:8], s[10:11], v[7:8]
	v_and_or_b32 v0, 0x1ff, v6, v5
	s_delay_alu instid0(VALU_DEP_2)
	v_and_or_b32 v7, 0x1ff, v8, v7
	v_lshrrev_b32_e32 v3, 8, v6
	v_bfe_u32 v5, v6, 20, 11
	v_lshrrev_b32_e32 v9, 8, v8
	v_cmp_ne_u32_e32 vcc_lo, 0, v0
	v_bfe_u32 v10, v8, 20, 11
	v_lshrrev_b32_e32 v6, 16, v6
	v_sub_nc_u32_e32 v11, 0x3f1, v5
	v_add_nc_u32_e32 v5, 0xfffffc10, v5
	s_wait_alu 0xfffd
	v_cndmask_b32_e64 v0, 0, 1, vcc_lo
	v_cmp_ne_u32_e32 vcc_lo, 0, v7
	s_delay_alu instid0(VALU_DEP_2) | instskip(SKIP_4) | instid1(VALU_DEP_3)
	v_and_or_b32 v0, 0xffe, v3, v0
	s_wait_alu 0xfffd
	v_cndmask_b32_e64 v7, 0, 1, vcc_lo
	v_sub_nc_u32_e32 v3, 0x3f1, v10
	v_add_nc_u32_e32 v10, 0xfffffc10, v10
	v_and_or_b32 v7, 0xffe, v9, v7
	v_med3_i32 v9, v11, 0, 13
	v_or_b32_e32 v11, 0x1000, v0
	v_med3_i32 v3, v3, 0, 13
	s_delay_alu instid0(VALU_DEP_4) | instskip(NEXT) | instid1(VALU_DEP_3)
	v_or_b32_e32 v12, 0x1000, v7
	v_lshrrev_b32_e32 v13, v9, v11
	s_delay_alu instid0(VALU_DEP_2) | instskip(NEXT) | instid1(VALU_DEP_2)
	v_lshrrev_b32_e32 v14, v3, v12
	v_lshlrev_b32_e32 v9, v9, v13
	s_delay_alu instid0(VALU_DEP_2) | instskip(NEXT) | instid1(VALU_DEP_2)
	v_lshlrev_b32_e32 v3, v3, v14
	v_cmp_ne_u32_e32 vcc_lo, v9, v11
	v_lshl_or_b32 v11, v5, 12, v0
	s_wait_alu 0xfffd
	v_cndmask_b32_e64 v9, 0, 1, vcc_lo
	v_cmp_ne_u32_e32 vcc_lo, v3, v12
	v_lshl_or_b32 v12, v10, 12, v7
	s_delay_alu instid0(VALU_DEP_3) | instskip(SKIP_3) | instid1(VALU_DEP_2)
	v_or_b32_e32 v9, v13, v9
	s_wait_alu 0xfffd
	v_cndmask_b32_e64 v3, 0, 1, vcc_lo
	v_cmp_gt_i32_e32 vcc_lo, 1, v5
	v_or_b32_e32 v3, v14, v3
	s_wait_alu 0xfffd
	v_cndmask_b32_e32 v9, v11, v9, vcc_lo
	v_cmp_gt_i32_e32 vcc_lo, 1, v10
	s_delay_alu instid0(VALU_DEP_2)
	v_and_b32_e32 v11, 7, v9
	s_wait_alu 0xfffd
	v_cndmask_b32_e32 v3, v12, v3, vcc_lo
	v_cmp_ne_u32_e32 vcc_lo, 0, v0
	v_lshrrev_b32_e32 v9, 2, v9
	v_cmp_eq_u32_e64 s0, 3, v11
	s_delay_alu instid0(VALU_DEP_4)
	v_and_b32_e32 v12, 7, v3
	s_wait_alu 0xfffd
	v_cndmask_b32_e64 v0, 0, 1, vcc_lo
	v_cmp_ne_u32_e32 vcc_lo, 0, v7
	v_lshrrev_b32_e32 v3, 2, v3
	v_cmp_lt_i32_e64 s1, 5, v12
	v_cmp_eq_u32_e64 s2, 3, v12
	s_wait_alu 0xfffd
	v_cndmask_b32_e64 v7, 0, 1, vcc_lo
	v_cmp_lt_i32_e32 vcc_lo, 5, v11
	v_lshl_or_b32 v0, v0, 9, 0x7c00
	s_delay_alu instid0(VALU_DEP_3)
	v_lshl_or_b32 v7, v7, 9, 0x7c00
	s_or_b32 vcc_lo, s0, vcc_lo
	s_wait_alu 0xfffe
	v_add_co_ci_u32_e32 v9, vcc_lo, 0, v9, vcc_lo
	s_or_b32 vcc_lo, s2, s1
	s_wait_alu 0xfffe
	v_add_co_ci_u32_e32 v3, vcc_lo, 0, v3, vcc_lo
	v_cmp_gt_i32_e32 vcc_lo, 31, v5
	s_wait_alu 0xfffd
	v_cndmask_b32_e32 v9, 0x7c00, v9, vcc_lo
	v_cmp_gt_i32_e32 vcc_lo, 31, v10
	s_wait_alu 0xfffd
	v_cndmask_b32_e32 v3, 0x7c00, v3, vcc_lo
	v_cmp_eq_u32_e32 vcc_lo, 0x40f, v5
	v_lshrrev_b32_e32 v5, 16, v8
	s_wait_alu 0xfffd
	v_cndmask_b32_e32 v0, v9, v0, vcc_lo
	v_cmp_eq_u32_e32 vcc_lo, 0x40f, v10
	s_delay_alu instid0(VALU_DEP_2) | instskip(SKIP_2) | instid1(VALU_DEP_1)
	v_and_or_b32 v0, 0x8000, v6, v0
	s_wait_alu 0xfffd
	v_cndmask_b32_e32 v3, v3, v7, vcc_lo
	v_and_or_b32 v3, 0x8000, v5, v3
	s_delay_alu instid0(VALU_DEP_3) | instskip(SKIP_3) | instid1(VALU_DEP_3)
	v_and_b32_e32 v5, 0xffff, v0
	v_add_co_u32 v0, vcc_lo, v1, s4
	s_wait_alu 0xfffd
	v_add_co_ci_u32_e32 v1, vcc_lo, s5, v2, vcc_lo
	v_lshl_or_b32 v2, v3, 16, v5
	v_lshrrev_b32_e32 v3, 16, v4
	global_store_b32 v[0:1], v2, off
	global_load_b32 v2, v31, s[8:9] offset:1728
	s_wait_loadcnt 0x0
	v_lshrrev_b32_e32 v5, 16, v2
	s_delay_alu instid0(VALU_DEP_1) | instskip(SKIP_1) | instid1(VALU_DEP_2)
	v_mul_f16_e32 v6, v3, v5
	v_mul_f16_e32 v5, v4, v5
	v_fmac_f16_e32 v6, v4, v2
	s_delay_alu instid0(VALU_DEP_2) | instskip(NEXT) | instid1(VALU_DEP_2)
	v_fma_f16 v2, v2, v3, -v5
	v_cvt_f32_f16_e32 v3, v6
	s_delay_alu instid0(VALU_DEP_2) | instskip(NEXT) | instid1(VALU_DEP_2)
	v_cvt_f32_f16_e32 v4, v2
	v_cvt_f64_f32_e32 v[2:3], v3
	s_delay_alu instid0(VALU_DEP_2) | instskip(NEXT) | instid1(VALU_DEP_2)
	v_cvt_f64_f32_e32 v[4:5], v4
	v_mul_f64_e32 v[2:3], s[10:11], v[2:3]
	s_delay_alu instid0(VALU_DEP_2) | instskip(NEXT) | instid1(VALU_DEP_2)
	v_mul_f64_e32 v[4:5], s[10:11], v[4:5]
	v_and_or_b32 v2, 0x1ff, v3, v2
	s_delay_alu instid0(VALU_DEP_2)
	v_and_or_b32 v4, 0x1ff, v5, v4
	v_lshrrev_b32_e32 v6, 8, v3
	v_bfe_u32 v7, v3, 20, 11
	v_lshrrev_b32_e32 v8, 8, v5
	v_cmp_ne_u32_e32 vcc_lo, 0, v2
	v_bfe_u32 v9, v5, 20, 11
	v_lshrrev_b32_e32 v3, 16, v3
	v_sub_nc_u32_e32 v10, 0x3f1, v7
	v_add_nc_u32_e32 v7, 0xfffffc10, v7
	s_wait_alu 0xfffd
	v_cndmask_b32_e64 v2, 0, 1, vcc_lo
	v_cmp_ne_u32_e32 vcc_lo, 0, v4
	v_lshrrev_b32_e32 v5, 16, v5
	s_delay_alu instid0(VALU_DEP_3) | instskip(SKIP_3) | instid1(VALU_DEP_2)
	v_and_or_b32 v2, 0xffe, v6, v2
	s_wait_alu 0xfffd
	v_cndmask_b32_e64 v4, 0, 1, vcc_lo
	v_sub_nc_u32_e32 v6, 0x3f1, v9
	v_and_or_b32 v4, 0xffe, v8, v4
	v_med3_i32 v8, v10, 0, 13
	v_or_b32_e32 v10, 0x1000, v2
	s_delay_alu instid0(VALU_DEP_4) | instskip(NEXT) | instid1(VALU_DEP_4)
	v_med3_i32 v6, v6, 0, 13
	v_or_b32_e32 v11, 0x1000, v4
	s_delay_alu instid0(VALU_DEP_3) | instskip(NEXT) | instid1(VALU_DEP_2)
	v_lshrrev_b32_e32 v12, v8, v10
	v_lshrrev_b32_e32 v13, v6, v11
	s_delay_alu instid0(VALU_DEP_2) | instskip(NEXT) | instid1(VALU_DEP_2)
	v_lshlrev_b32_e32 v8, v8, v12
	v_lshlrev_b32_e32 v6, v6, v13
	s_delay_alu instid0(VALU_DEP_2) | instskip(SKIP_4) | instid1(VALU_DEP_2)
	v_cmp_ne_u32_e32 vcc_lo, v8, v10
	v_lshl_or_b32 v10, v7, 12, v2
	s_wait_alu 0xfffd
	v_cndmask_b32_e64 v8, 0, 1, vcc_lo
	v_cmp_ne_u32_e32 vcc_lo, v6, v11
	v_or_b32_e32 v8, v12, v8
	s_wait_alu 0xfffd
	v_cndmask_b32_e64 v6, 0, 1, vcc_lo
	v_cmp_gt_i32_e32 vcc_lo, 1, v7
	v_add_nc_u32_e32 v9, 0xfffffc10, v9
	s_delay_alu instid0(VALU_DEP_3) | instskip(SKIP_2) | instid1(VALU_DEP_3)
	v_or_b32_e32 v6, v13, v6
	s_wait_alu 0xfffd
	v_cndmask_b32_e32 v8, v10, v8, vcc_lo
	v_lshl_or_b32 v11, v9, 12, v4
	v_cmp_gt_i32_e32 vcc_lo, 1, v9
	s_delay_alu instid0(VALU_DEP_3)
	v_and_b32_e32 v10, 7, v8
	v_lshrrev_b32_e32 v8, 2, v8
	s_wait_alu 0xfffd
	v_cndmask_b32_e32 v6, v11, v6, vcc_lo
	v_cmp_ne_u32_e32 vcc_lo, 0, v2
	v_cmp_eq_u32_e64 s0, 3, v10
	s_wait_alu 0xfffd
	v_cndmask_b32_e64 v2, 0, 1, vcc_lo
	v_cmp_ne_u32_e32 vcc_lo, 0, v4
	s_delay_alu instid0(VALU_DEP_2) | instskip(SKIP_3) | instid1(VALU_DEP_2)
	v_lshl_or_b32 v2, v2, 9, 0x7c00
	s_wait_alu 0xfffd
	v_cndmask_b32_e64 v4, 0, 1, vcc_lo
	v_cmp_lt_i32_e32 vcc_lo, 5, v10
	v_lshl_or_b32 v4, v4, 9, 0x7c00
	s_or_b32 vcc_lo, s0, vcc_lo
	s_wait_alu 0xfffe
	v_add_co_ci_u32_e32 v8, vcc_lo, 0, v8, vcc_lo
	v_and_b32_e32 v11, 7, v6
	v_lshrrev_b32_e32 v6, 2, v6
	s_delay_alu instid0(VALU_DEP_2) | instskip(SKIP_1) | instid1(VALU_DEP_1)
	v_cmp_lt_i32_e64 s1, 5, v11
	v_cmp_eq_u32_e64 s2, 3, v11
	s_or_b32 vcc_lo, s2, s1
	s_wait_alu 0xfffe
	v_add_co_ci_u32_e32 v6, vcc_lo, 0, v6, vcc_lo
	v_cmp_gt_i32_e32 vcc_lo, 31, v7
	s_wait_alu 0xfffd
	v_cndmask_b32_e32 v8, 0x7c00, v8, vcc_lo
	v_cmp_gt_i32_e32 vcc_lo, 31, v9
	s_wait_alu 0xfffd
	v_cndmask_b32_e32 v6, 0x7c00, v6, vcc_lo
	v_cmp_eq_u32_e32 vcc_lo, 0x40f, v7
	s_wait_alu 0xfffd
	v_cndmask_b32_e32 v2, v8, v2, vcc_lo
	v_cmp_eq_u32_e32 vcc_lo, 0x40f, v9
	s_delay_alu instid0(VALU_DEP_2)
	v_and_or_b32 v2, 0x8000, v3, v2
	s_wait_alu 0xfffd
	v_cndmask_b32_e32 v4, v6, v4, vcc_lo
	v_add_co_u32 v0, vcc_lo, v0, s4
	s_wait_alu 0xfffd
	v_add_co_ci_u32_e32 v1, vcc_lo, s5, v1, vcc_lo
	s_delay_alu instid0(VALU_DEP_3) | instskip(SKIP_1) | instid1(VALU_DEP_1)
	v_and_or_b32 v3, 0x8000, v5, v4
	v_and_b32_e32 v2, 0xffff, v2
	v_lshl_or_b32 v2, v3, 16, v2
	global_store_b32 v[0:1], v2, off
.LBB0_15:
	s_nop 0
	s_sendmsg sendmsg(MSG_DEALLOC_VGPRS)
	s_endpgm
	.section	.rodata,"a",@progbits
	.p2align	6, 0x0
	.amdhsa_kernel bluestein_single_fwd_len459_dim1_half_op_CI_CI
		.amdhsa_group_segment_fixed_size 9180
		.amdhsa_private_segment_fixed_size 0
		.amdhsa_kernarg_size 104
		.amdhsa_user_sgpr_count 2
		.amdhsa_user_sgpr_dispatch_ptr 0
		.amdhsa_user_sgpr_queue_ptr 0
		.amdhsa_user_sgpr_kernarg_segment_ptr 1
		.amdhsa_user_sgpr_dispatch_id 0
		.amdhsa_user_sgpr_private_segment_size 0
		.amdhsa_wavefront_size32 1
		.amdhsa_uses_dynamic_stack 0
		.amdhsa_enable_private_segment 0
		.amdhsa_system_sgpr_workgroup_id_x 1
		.amdhsa_system_sgpr_workgroup_id_y 0
		.amdhsa_system_sgpr_workgroup_id_z 0
		.amdhsa_system_sgpr_workgroup_info 0
		.amdhsa_system_vgpr_workitem_id 0
		.amdhsa_next_free_vgpr 229
		.amdhsa_next_free_sgpr 14
		.amdhsa_reserve_vcc 1
		.amdhsa_float_round_mode_32 0
		.amdhsa_float_round_mode_16_64 0
		.amdhsa_float_denorm_mode_32 3
		.amdhsa_float_denorm_mode_16_64 3
		.amdhsa_fp16_overflow 0
		.amdhsa_workgroup_processor_mode 1
		.amdhsa_memory_ordered 1
		.amdhsa_forward_progress 0
		.amdhsa_round_robin_scheduling 0
		.amdhsa_exception_fp_ieee_invalid_op 0
		.amdhsa_exception_fp_denorm_src 0
		.amdhsa_exception_fp_ieee_div_zero 0
		.amdhsa_exception_fp_ieee_overflow 0
		.amdhsa_exception_fp_ieee_underflow 0
		.amdhsa_exception_fp_ieee_inexact 0
		.amdhsa_exception_int_div_zero 0
	.end_amdhsa_kernel
	.text
.Lfunc_end0:
	.size	bluestein_single_fwd_len459_dim1_half_op_CI_CI, .Lfunc_end0-bluestein_single_fwd_len459_dim1_half_op_CI_CI
                                        ; -- End function
	.section	.AMDGPU.csdata,"",@progbits
; Kernel info:
; codeLenInByte = 31992
; NumSgprs: 16
; NumVgprs: 229
; ScratchSize: 0
; MemoryBound: 0
; FloatMode: 240
; IeeeMode: 1
; LDSByteSize: 9180 bytes/workgroup (compile time only)
; SGPRBlocks: 1
; VGPRBlocks: 28
; NumSGPRsForWavesPerEU: 16
; NumVGPRsForWavesPerEU: 229
; Occupancy: 6
; WaveLimiterHint : 1
; COMPUTE_PGM_RSRC2:SCRATCH_EN: 0
; COMPUTE_PGM_RSRC2:USER_SGPR: 2
; COMPUTE_PGM_RSRC2:TRAP_HANDLER: 0
; COMPUTE_PGM_RSRC2:TGID_X_EN: 1
; COMPUTE_PGM_RSRC2:TGID_Y_EN: 0
; COMPUTE_PGM_RSRC2:TGID_Z_EN: 0
; COMPUTE_PGM_RSRC2:TIDIG_COMP_CNT: 0
	.text
	.p2alignl 7, 3214868480
	.fill 96, 4, 3214868480
	.type	__hip_cuid_f437cb43d9d4c365,@object ; @__hip_cuid_f437cb43d9d4c365
	.section	.bss,"aw",@nobits
	.globl	__hip_cuid_f437cb43d9d4c365
__hip_cuid_f437cb43d9d4c365:
	.byte	0                               ; 0x0
	.size	__hip_cuid_f437cb43d9d4c365, 1

	.ident	"AMD clang version 19.0.0git (https://github.com/RadeonOpenCompute/llvm-project roc-6.4.0 25133 c7fe45cf4b819c5991fe208aaa96edf142730f1d)"
	.section	".note.GNU-stack","",@progbits
	.addrsig
	.addrsig_sym __hip_cuid_f437cb43d9d4c365
	.amdgpu_metadata
---
amdhsa.kernels:
  - .args:
      - .actual_access:  read_only
        .address_space:  global
        .offset:         0
        .size:           8
        .value_kind:     global_buffer
      - .actual_access:  read_only
        .address_space:  global
        .offset:         8
        .size:           8
        .value_kind:     global_buffer
      - .actual_access:  read_only
        .address_space:  global
        .offset:         16
        .size:           8
        .value_kind:     global_buffer
      - .actual_access:  read_only
        .address_space:  global
        .offset:         24
        .size:           8
        .value_kind:     global_buffer
      - .actual_access:  read_only
        .address_space:  global
        .offset:         32
        .size:           8
        .value_kind:     global_buffer
      - .offset:         40
        .size:           8
        .value_kind:     by_value
      - .address_space:  global
        .offset:         48
        .size:           8
        .value_kind:     global_buffer
      - .address_space:  global
        .offset:         56
        .size:           8
        .value_kind:     global_buffer
      - .address_space:  global
        .offset:         64
        .size:           8
        .value_kind:     global_buffer
      - .address_space:  global
        .offset:         72
        .size:           8
        .value_kind:     global_buffer
      - .offset:         80
        .size:           4
        .value_kind:     by_value
      - .address_space:  global
        .offset:         88
        .size:           8
        .value_kind:     global_buffer
      - .address_space:  global
        .offset:         96
        .size:           8
        .value_kind:     global_buffer
    .group_segment_fixed_size: 9180
    .kernarg_segment_align: 8
    .kernarg_segment_size: 104
    .language:       OpenCL C
    .language_version:
      - 2
      - 0
    .max_flat_workgroup_size: 255
    .name:           bluestein_single_fwd_len459_dim1_half_op_CI_CI
    .private_segment_fixed_size: 0
    .sgpr_count:     16
    .sgpr_spill_count: 0
    .symbol:         bluestein_single_fwd_len459_dim1_half_op_CI_CI.kd
    .uniform_work_group_size: 1
    .uses_dynamic_stack: false
    .vgpr_count:     229
    .vgpr_spill_count: 0
    .wavefront_size: 32
    .workgroup_processor_mode: 1
amdhsa.target:   amdgcn-amd-amdhsa--gfx1201
amdhsa.version:
  - 1
  - 2
...

	.end_amdgpu_metadata
